;; amdgpu-corpus repo=ROCm/composable_kernel kind=compiled arch=gfx950 opt=O3
	.amdgcn_target "amdgcn-amd-amdhsa--gfx950"
	.amdhsa_code_object_version 6
	.section	.text._ZN2ckL12flush_icacheEv,"axG",@progbits,_ZN2ckL12flush_icacheEv,comdat
	.globl	_ZN2ckL12flush_icacheEv         ; -- Begin function _ZN2ckL12flush_icacheEv
	.p2align	8
	.type	_ZN2ckL12flush_icacheEv,@function
_ZN2ckL12flush_icacheEv:                ; @_ZN2ckL12flush_icacheEv
; %bb.0:
	;;#ASMSTART
	s_icache_inv 
	s_nop 0 
	s_nop 0 
	;; [unrolled: 1-line block ×16, first 2 shown]
	
	;;#ASMEND
	s_endpgm
	.section	.rodata,"a",@progbits
	.p2align	6, 0x0
	.amdhsa_kernel _ZN2ckL12flush_icacheEv
		.amdhsa_group_segment_fixed_size 0
		.amdhsa_private_segment_fixed_size 0
		.amdhsa_kernarg_size 0
		.amdhsa_user_sgpr_count 0
		.amdhsa_user_sgpr_dispatch_ptr 0
		.amdhsa_user_sgpr_queue_ptr 0
		.amdhsa_user_sgpr_kernarg_segment_ptr 0
		.amdhsa_user_sgpr_dispatch_id 0
		.amdhsa_user_sgpr_kernarg_preload_length 0
		.amdhsa_user_sgpr_kernarg_preload_offset 0
		.amdhsa_user_sgpr_private_segment_size 0
		.amdhsa_uses_dynamic_stack 0
		.amdhsa_enable_private_segment 0
		.amdhsa_system_sgpr_workgroup_id_x 1
		.amdhsa_system_sgpr_workgroup_id_y 0
		.amdhsa_system_sgpr_workgroup_id_z 0
		.amdhsa_system_sgpr_workgroup_info 0
		.amdhsa_system_vgpr_workitem_id 0
		.amdhsa_next_free_vgpr 1
		.amdhsa_next_free_sgpr 0
		.amdhsa_accum_offset 4
		.amdhsa_reserve_vcc 0
		.amdhsa_float_round_mode_32 0
		.amdhsa_float_round_mode_16_64 0
		.amdhsa_float_denorm_mode_32 3
		.amdhsa_float_denorm_mode_16_64 3
		.amdhsa_dx10_clamp 1
		.amdhsa_ieee_mode 1
		.amdhsa_fp16_overflow 0
		.amdhsa_tg_split 0
		.amdhsa_exception_fp_ieee_invalid_op 0
		.amdhsa_exception_fp_denorm_src 0
		.amdhsa_exception_fp_ieee_div_zero 0
		.amdhsa_exception_fp_ieee_overflow 0
		.amdhsa_exception_fp_ieee_underflow 0
		.amdhsa_exception_fp_ieee_inexact 0
		.amdhsa_exception_int_div_zero 0
	.end_amdhsa_kernel
	.section	.text._ZN2ckL12flush_icacheEv,"axG",@progbits,_ZN2ckL12flush_icacheEv,comdat
.Lfunc_end0:
	.size	_ZN2ckL12flush_icacheEv, .Lfunc_end0-_ZN2ckL12flush_icacheEv
                                        ; -- End function
	.set _ZN2ckL12flush_icacheEv.num_vgpr, 0
	.set _ZN2ckL12flush_icacheEv.num_agpr, 0
	.set _ZN2ckL12flush_icacheEv.numbered_sgpr, 0
	.set _ZN2ckL12flush_icacheEv.num_named_barrier, 0
	.set _ZN2ckL12flush_icacheEv.private_seg_size, 0
	.set _ZN2ckL12flush_icacheEv.uses_vcc, 0
	.set _ZN2ckL12flush_icacheEv.uses_flat_scratch, 0
	.set _ZN2ckL12flush_icacheEv.has_dyn_sized_stack, 0
	.set _ZN2ckL12flush_icacheEv.has_recursion, 0
	.set _ZN2ckL12flush_icacheEv.has_indirect_call, 0
	.section	.AMDGPU.csdata,"",@progbits
; Kernel info:
; codeLenInByte = 276
; TotalNumSgprs: 6
; NumVgprs: 0
; NumAgprs: 0
; TotalNumVgprs: 0
; ScratchSize: 0
; MemoryBound: 0
; FloatMode: 240
; IeeeMode: 1
; LDSByteSize: 0 bytes/workgroup (compile time only)
; SGPRBlocks: 0
; VGPRBlocks: 0
; NumSGPRsForWavesPerEU: 6
; NumVGPRsForWavesPerEU: 1
; AccumOffset: 4
; Occupancy: 8
; WaveLimiterHint : 0
; COMPUTE_PGM_RSRC2:SCRATCH_EN: 0
; COMPUTE_PGM_RSRC2:USER_SGPR: 0
; COMPUTE_PGM_RSRC2:TRAP_HANDLER: 0
; COMPUTE_PGM_RSRC2:TGID_X_EN: 1
; COMPUTE_PGM_RSRC2:TGID_Y_EN: 0
; COMPUTE_PGM_RSRC2:TGID_Z_EN: 0
; COMPUTE_PGM_RSRC2:TIDIG_COMP_CNT: 0
; COMPUTE_PGM_RSRC3_GFX90A:ACCUM_OFFSET: 0
; COMPUTE_PGM_RSRC3_GFX90A:TG_SPLIT: 0
	.section	.text._ZN2ck27kernel_gemm_xdl_cshuffle_v3INS_28GridwiseGemm_xdl_cshuffle_v3INS_13tensor_layout4gemm8RowMajorENS3_11ColumnMajorES4_DF16_NS_9f8_fnuz_tEfDF16_DF16_NS_16tensor_operation12element_wise11PassThroughES9_S9_LNS7_6device18GemmSpecializationE0ELi64ELi32ELi32ELi256ELi8ELi16ELi16ELi16ELi2ELi2ENS_8SequenceIJLi32ELi2ELi1EEEENSC_IJLi1ELi0ELi2EEEESE_Li2ELi8ELi8ELb0ELi0ENSC_IJLi16ELi4ELi1EEEESE_SE_Li2ELi16ELi16ELb0ELi0ELi1ELi1ENSC_IJLi1ELi16ELi1ELi4EEEELi4ELNS_26BlockGemmPipelineSchedulerE1ELNS_24BlockGemmPipelineVersionE0EDF16_DF16_Lb0ELb0ELb0ELi0ELb0EEELb1ELNS_25InMemoryDataOperationEnumE1ELi2ELNS_10TailNumberE10EEEvNT_8ArgumentE,"axG",@progbits,_ZN2ck27kernel_gemm_xdl_cshuffle_v3INS_28GridwiseGemm_xdl_cshuffle_v3INS_13tensor_layout4gemm8RowMajorENS3_11ColumnMajorES4_DF16_NS_9f8_fnuz_tEfDF16_DF16_NS_16tensor_operation12element_wise11PassThroughES9_S9_LNS7_6device18GemmSpecializationE0ELi64ELi32ELi32ELi256ELi8ELi16ELi16ELi16ELi2ELi2ENS_8SequenceIJLi32ELi2ELi1EEEENSC_IJLi1ELi0ELi2EEEESE_Li2ELi8ELi8ELb0ELi0ENSC_IJLi16ELi4ELi1EEEESE_SE_Li2ELi16ELi16ELb0ELi0ELi1ELi1ENSC_IJLi1ELi16ELi1ELi4EEEELi4ELNS_26BlockGemmPipelineSchedulerE1ELNS_24BlockGemmPipelineVersionE0EDF16_DF16_Lb0ELb0ELb0ELi0ELb0EEELb1ELNS_25InMemoryDataOperationEnumE1ELi2ELNS_10TailNumberE10EEEvNT_8ArgumentE,comdat
	.protected	_ZN2ck27kernel_gemm_xdl_cshuffle_v3INS_28GridwiseGemm_xdl_cshuffle_v3INS_13tensor_layout4gemm8RowMajorENS3_11ColumnMajorES4_DF16_NS_9f8_fnuz_tEfDF16_DF16_NS_16tensor_operation12element_wise11PassThroughES9_S9_LNS7_6device18GemmSpecializationE0ELi64ELi32ELi32ELi256ELi8ELi16ELi16ELi16ELi2ELi2ENS_8SequenceIJLi32ELi2ELi1EEEENSC_IJLi1ELi0ELi2EEEESE_Li2ELi8ELi8ELb0ELi0ENSC_IJLi16ELi4ELi1EEEESE_SE_Li2ELi16ELi16ELb0ELi0ELi1ELi1ENSC_IJLi1ELi16ELi1ELi4EEEELi4ELNS_26BlockGemmPipelineSchedulerE1ELNS_24BlockGemmPipelineVersionE0EDF16_DF16_Lb0ELb0ELb0ELi0ELb0EEELb1ELNS_25InMemoryDataOperationEnumE1ELi2ELNS_10TailNumberE10EEEvNT_8ArgumentE ; -- Begin function _ZN2ck27kernel_gemm_xdl_cshuffle_v3INS_28GridwiseGemm_xdl_cshuffle_v3INS_13tensor_layout4gemm8RowMajorENS3_11ColumnMajorES4_DF16_NS_9f8_fnuz_tEfDF16_DF16_NS_16tensor_operation12element_wise11PassThroughES9_S9_LNS7_6device18GemmSpecializationE0ELi64ELi32ELi32ELi256ELi8ELi16ELi16ELi16ELi2ELi2ENS_8SequenceIJLi32ELi2ELi1EEEENSC_IJLi1ELi0ELi2EEEESE_Li2ELi8ELi8ELb0ELi0ENSC_IJLi16ELi4ELi1EEEESE_SE_Li2ELi16ELi16ELb0ELi0ELi1ELi1ENSC_IJLi1ELi16ELi1ELi4EEEELi4ELNS_26BlockGemmPipelineSchedulerE1ELNS_24BlockGemmPipelineVersionE0EDF16_DF16_Lb0ELb0ELb0ELi0ELb0EEELb1ELNS_25InMemoryDataOperationEnumE1ELi2ELNS_10TailNumberE10EEEvNT_8ArgumentE
	.globl	_ZN2ck27kernel_gemm_xdl_cshuffle_v3INS_28GridwiseGemm_xdl_cshuffle_v3INS_13tensor_layout4gemm8RowMajorENS3_11ColumnMajorES4_DF16_NS_9f8_fnuz_tEfDF16_DF16_NS_16tensor_operation12element_wise11PassThroughES9_S9_LNS7_6device18GemmSpecializationE0ELi64ELi32ELi32ELi256ELi8ELi16ELi16ELi16ELi2ELi2ENS_8SequenceIJLi32ELi2ELi1EEEENSC_IJLi1ELi0ELi2EEEESE_Li2ELi8ELi8ELb0ELi0ENSC_IJLi16ELi4ELi1EEEESE_SE_Li2ELi16ELi16ELb0ELi0ELi1ELi1ENSC_IJLi1ELi16ELi1ELi4EEEELi4ELNS_26BlockGemmPipelineSchedulerE1ELNS_24BlockGemmPipelineVersionE0EDF16_DF16_Lb0ELb0ELb0ELi0ELb0EEELb1ELNS_25InMemoryDataOperationEnumE1ELi2ELNS_10TailNumberE10EEEvNT_8ArgumentE
	.p2align	8
	.type	_ZN2ck27kernel_gemm_xdl_cshuffle_v3INS_28GridwiseGemm_xdl_cshuffle_v3INS_13tensor_layout4gemm8RowMajorENS3_11ColumnMajorES4_DF16_NS_9f8_fnuz_tEfDF16_DF16_NS_16tensor_operation12element_wise11PassThroughES9_S9_LNS7_6device18GemmSpecializationE0ELi64ELi32ELi32ELi256ELi8ELi16ELi16ELi16ELi2ELi2ENS_8SequenceIJLi32ELi2ELi1EEEENSC_IJLi1ELi0ELi2EEEESE_Li2ELi8ELi8ELb0ELi0ENSC_IJLi16ELi4ELi1EEEESE_SE_Li2ELi16ELi16ELb0ELi0ELi1ELi1ENSC_IJLi1ELi16ELi1ELi4EEEELi4ELNS_26BlockGemmPipelineSchedulerE1ELNS_24BlockGemmPipelineVersionE0EDF16_DF16_Lb0ELb0ELb0ELi0ELb0EEELb1ELNS_25InMemoryDataOperationEnumE1ELi2ELNS_10TailNumberE10EEEvNT_8ArgumentE,@function
_ZN2ck27kernel_gemm_xdl_cshuffle_v3INS_28GridwiseGemm_xdl_cshuffle_v3INS_13tensor_layout4gemm8RowMajorENS3_11ColumnMajorES4_DF16_NS_9f8_fnuz_tEfDF16_DF16_NS_16tensor_operation12element_wise11PassThroughES9_S9_LNS7_6device18GemmSpecializationE0ELi64ELi32ELi32ELi256ELi8ELi16ELi16ELi16ELi2ELi2ENS_8SequenceIJLi32ELi2ELi1EEEENSC_IJLi1ELi0ELi2EEEESE_Li2ELi8ELi8ELb0ELi0ENSC_IJLi16ELi4ELi1EEEESE_SE_Li2ELi16ELi16ELb0ELi0ELi1ELi1ENSC_IJLi1ELi16ELi1ELi4EEEELi4ELNS_26BlockGemmPipelineSchedulerE1ELNS_24BlockGemmPipelineVersionE0EDF16_DF16_Lb0ELb0ELb0ELi0ELb0EEELb1ELNS_25InMemoryDataOperationEnumE1ELi2ELNS_10TailNumberE10EEEvNT_8ArgumentE: ; @_ZN2ck27kernel_gemm_xdl_cshuffle_v3INS_28GridwiseGemm_xdl_cshuffle_v3INS_13tensor_layout4gemm8RowMajorENS3_11ColumnMajorES4_DF16_NS_9f8_fnuz_tEfDF16_DF16_NS_16tensor_operation12element_wise11PassThroughES9_S9_LNS7_6device18GemmSpecializationE0ELi64ELi32ELi32ELi256ELi8ELi16ELi16ELi16ELi2ELi2ENS_8SequenceIJLi32ELi2ELi1EEEENSC_IJLi1ELi0ELi2EEEESE_Li2ELi8ELi8ELb0ELi0ENSC_IJLi16ELi4ELi1EEEESE_SE_Li2ELi16ELi16ELb0ELi0ELi1ELi1ENSC_IJLi1ELi16ELi1ELi4EEEELi4ELNS_26BlockGemmPipelineSchedulerE1ELNS_24BlockGemmPipelineVersionE0EDF16_DF16_Lb0ELb0ELb0ELi0ELb0EEELb1ELNS_25InMemoryDataOperationEnumE1ELi2ELNS_10TailNumberE10EEEvNT_8ArgumentE
; %bb.0:
	s_load_dwordx8 s[4:11], s[0:1], 0x10
	s_load_dwordx2 s[16:17], s[0:1], 0x60
	s_waitcnt lgkmcnt(0)
	s_load_dword s11, s[0:1], 0x68
	s_load_dword s21, s[0:1], 0x3c
	s_load_dwordx4 s[12:15], s[0:1], 0x50
	s_cmp_gt_i32 s10, 1
	s_cselect_b64 s[18:19], -1, 0
	s_waitcnt lgkmcnt(0)
	s_bitcmp1_b32 s11, 0
	s_cselect_b64 s[22:23], -1, 0
	s_and_b64 s[18:19], s[18:19], s[22:23]
	s_andn2_b64 vcc, exec, s[18:19]
	s_mov_b64 s[18:19], 0
	s_cbranch_vccnz .LBB1_2
; %bb.1:
	s_mul_i32 s11, s4, s3
	s_mul_i32 s18, s11, s5
	s_ashr_i32 s19, s18, 31
.LBB1_2:
	s_load_dword s22, s[0:1], 0x34
	s_add_i32 s20, s4, -1
	s_cmp_lt_u32 s20, 32
	s_mov_b32 s11, 0
	s_cbranch_scc1 .LBB1_10
; %bb.3:
	s_add_i32 s0, s5, -1
	s_cmp_lt_u32 s0, 32
	s_mov_b32 s0, 0
	s_cbranch_scc1 .LBB1_9
; %bb.4:
	s_add_i32 s0, s4, 31
	s_ashr_i32 s1, s0, 31
	s_lshr_b32 s1, s1, 27
	s_add_i32 s0, s0, s1
	s_ashr_i32 s23, s0, 5
	s_add_i32 s0, s5, 31
	s_ashr_i32 s1, s0, 31
	s_lshr_b32 s1, s1, 27
	s_add_i32 s0, s0, s1
	s_ashr_i32 s11, s0, 5
	s_mul_i32 s0, s11, s23
	s_add_i32 s1, s0, 7
	s_ashr_i32 s24, s1, 31
	s_lshr_b32 s24, s24, 29
	s_add_i32 s1, s1, s24
	s_ashr_i32 s24, s1, 3
	s_and_b32 s1, s1, -8
	s_sub_i32 s25, s0, s1
	s_ashr_i32 s0, s2, 31
	s_lshr_b32 s0, s0, 29
	s_add_i32 s27, s2, s0
	s_and_b32 s0, s27, -8
	s_add_i32 s25, s25, 8
	s_sub_i32 s26, s2, s0
	s_cmp_gt_i32 s26, s25
	s_cbranch_scc1 .LBB1_6
; %bb.5:
	s_mul_i32 s2, s24, s26
	s_ashr_i32 s0, s27, 3
	s_cbranch_execz .LBB1_7
	s_branch .LBB1_8
.LBB1_6:
                                        ; implicit-def: $sgpr2
	s_ashr_i32 s0, s27, 3
.LBB1_7:
	s_add_i32 s1, s24, -1
	s_mul_i32 s1, s1, s26
	s_add_i32 s2, s25, s1
.LBB1_8:
	s_abs_i32 s1, s11
	v_cvt_f32_u32_e32 v1, s1
	s_sub_i32 s25, 0, s1
	s_add_i32 s0, s2, s0
	s_abs_i32 s24, s0
	v_rcp_iflag_f32_e32 v1, v1
	s_xor_b32 s2, s0, s11
	s_ashr_i32 s2, s2, 31
	v_mul_f32_e32 v1, 0x4f7ffffe, v1
	v_cvt_u32_f32_e32 v1, v1
	s_nop 0
	v_readfirstlane_b32 s26, v1
	s_mul_i32 s25, s25, s26
	s_mul_hi_u32 s25, s26, s25
	s_add_i32 s26, s26, s25
	s_mul_hi_u32 s25, s24, s26
	s_mul_i32 s26, s25, s1
	s_sub_i32 s24, s24, s26
	s_add_i32 s27, s25, 1
	s_sub_i32 s26, s24, s1
	s_cmp_ge_u32 s24, s1
	s_cselect_b32 s25, s27, s25
	s_cselect_b32 s24, s26, s24
	s_add_i32 s26, s25, 1
	s_cmp_ge_u32 s24, s1
	s_cselect_b32 s1, s26, s25
	s_xor_b32 s1, s1, s2
	s_lshr_b32 s24, s23, 30
	s_sub_i32 s1, s1, s2
	s_add_i32 s24, s23, s24
	s_mul_i32 s2, s1, s11
	s_sub_i32 s0, s0, s2
	s_and_b32 s2, s24, -4
	s_sub_i32 s23, s23, s2
	s_cmp_ge_i32 s1, s2
	s_cselect_b32 s2, s23, 4
	s_abs_i32 s24, s2
	v_cvt_f32_u32_e32 v1, s24
	s_ashr_i32 s23, s1, 31
	s_lshr_b32 s23, s23, 30
	s_add_i32 s23, s1, s23
	v_rcp_iflag_f32_e32 v1, v1
	s_and_b32 s23, s23, -4
	s_sub_i32 s23, s1, s23
	s_sub_i32 s26, 0, s24
	v_mul_f32_e32 v1, 0x4f7ffffe, v1
	v_cvt_u32_f32_e32 v1, v1
	s_mul_i32 s11, s23, s11
	s_add_i32 s11, s11, s0
	s_abs_i32 s25, s11
	v_readfirstlane_b32 s27, v1
	s_mul_i32 s26, s26, s27
	s_mul_hi_u32 s26, s27, s26
	s_add_i32 s27, s27, s26
	s_mul_hi_u32 s26, s25, s27
	s_mul_i32 s27, s26, s24
	s_xor_b32 s0, s11, s2
	s_sub_i32 s25, s25, s27
	s_ashr_i32 s0, s0, 31
	s_add_i32 s27, s26, 1
	s_sub_i32 s28, s25, s24
	s_cmp_ge_u32 s25, s24
	s_cselect_b32 s26, s27, s26
	s_cselect_b32 s25, s28, s25
	s_add_i32 s27, s26, 1
	s_cmp_ge_u32 s25, s24
	s_cselect_b32 s24, s27, s26
	s_xor_b32 s24, s24, s0
	s_sub_i32 s0, s24, s0
	s_mul_i32 s2, s0, s2
	s_sub_i32 s2, s11, s2
	s_add_i32 s2, s2, s1
	s_sub_i32 s2, s2, s23
.LBB1_9:
	s_mov_b32 s11, s2
	s_mov_b32 s2, s0
.LBB1_10:
	s_add_i32 s0, s10, -1
	s_waitcnt lgkmcnt(0)
	s_mul_i32 s1, s0, s22
	s_sub_i32 s1, s6, s1
	s_mul_i32 s24, s22, s3
	s_cmp_lt_u32 s3, s0
	s_cselect_b32 s10, s22, s1
	s_ashr_i32 s25, s24, 31
	s_lshl_b64 s[0:1], s[24:25], 1
	s_add_u32 s0, s12, s0
	v_lshrrev_b32_e32 v1, 1, v0
	s_addc_u32 s1, s13, s1
	v_and_b32_e32 v98, 16, v1
	s_add_u32 s12, s14, s24
	v_and_b32_e32 v113, 31, v0
	v_lshl_or_b32 v99, s11, 5, v98
	s_addc_u32 s13, s15, s25
	s_mul_i32 s3, s20, s7
	s_add_i32 s6, s5, -1
	v_mul_lo_u32 v100, v99, s7
	v_bitop3_b32 v101, v1, v113, 16 bitop3:0x6c
	v_lshlrev_b32_e32 v2, 8, v98
	s_mul_i32 s14, s6, s8
	s_lshl_b32 s6, s2, 5
	v_lshl_add_u32 v6, v113, 3, v100
	v_lshl_or_b32 v102, v101, 3, v2
	v_and_b32_e32 v2, 24, v1
	s_add_i32 s2, s10, s3
	v_or_b32_e32 v103, s6, v2
	v_lshlrev_b32_e32 v7, 8, v2
	s_lshl_b32 s2, s2, 1
	s_and_b32 s1, s1, 0xffff
	s_mov_b32 s3, 0x20000
	v_lshlrev_b32_e32 v2, 1, v6
	buffer_load_dwordx4 v[2:5], v2, s[0:3], 0 offen
	v_and_b32_e32 v114, 15, v0
	v_add_u32_e32 v10, s7, v6
	v_bitop3_b32 v106, v1, v114, 8 bitop3:0x6c
	v_lshlrev_b32_e32 v6, 1, v10
	v_lshl_or_b32 v107, v106, 4, v7
	buffer_load_dwordx4 v[6:9], v6, s[0:3], 0 offen
	v_lshlrev_b32_e32 v11, 2, v0
	v_add_u32_e32 v15, s7, v10
	v_and_b32_e32 v115, 0xc0, v11
	v_lshlrev_b32_e32 v10, 1, v15
	scratch_store_dword off, v11, off offset:240 ; 4-byte Folded Spill
	v_lshrrev_b32_e32 v14, 4, v115
	buffer_load_dwordx4 v[10:13], v10, s[0:3], 0 offen
	v_bitop3_b32 v110, v14, v0, 15 bitop3:0x78
	v_lshlrev_b32_e32 v14, 8, v114
	v_add_u32_e32 v18, s7, v15
	v_lshl_or_b32 v210, v110, 4, v14
	v_lshlrev_b32_e32 v14, 1, v18
	buffer_load_dwordx4 v[14:17], v14, s[0:3], 0 offen
	v_add_u32_e32 v22, s7, v18
	v_lshlrev_b32_e32 v18, 1, v22
	buffer_load_dwordx4 v[18:21], v18, s[0:3], 0 offen
	v_add_u32_e32 v26, s7, v22
	;; [unrolled: 3-line block ×3, first 2 shown]
	v_lshlrev_b32_e32 v34, 1, v26
	v_add_u32_e32 v35, s7, v26
	v_lshlrev_b32_e32 v36, 1, v35
	buffer_load_dwordx4 v[26:29], v34, s[0:3], 0 offen
	buffer_load_dwordx4 v[30:33], v36, s[0:3], 0 offen
	v_add_u32_e32 v34, s7, v35
	v_lshlrev_b32_e32 v42, 1, v34
	v_add_u32_e32 v43, s7, v34
	v_lshlrev_b32_e32 v44, 1, v43
	buffer_load_dwordx4 v[34:37], v42, s[0:3], 0 offen
	buffer_load_dwordx4 v[38:41], v44, s[0:3], 0 offen
	v_add_u32_e32 v42, s7, v43
	v_lshlrev_b32_e32 v50, 1, v42
	v_add_u32_e32 v51, s7, v42
	v_lshlrev_b32_e32 v52, 1, v51
	buffer_load_dwordx4 v[42:45], v50, s[0:3], 0 offen
	buffer_load_dwordx4 v[46:49], v52, s[0:3], 0 offen
	v_add_u32_e32 v50, s7, v51
	v_lshlrev_b32_e32 v58, 1, v50
	v_add_u32_e32 v59, s7, v50
	v_lshlrev_b32_e32 v60, 1, v59
	buffer_load_dwordx4 v[50:53], v58, s[0:3], 0 offen
	buffer_load_dwordx4 v[54:57], v60, s[0:3], 0 offen
	v_add_u32_e32 v58, s7, v59
	v_lshlrev_b32_e32 v66, 1, v58
	s_ashr_i32 s15, s21, 31
	v_add_lshl_u32 v67, v58, s7, 1
	buffer_load_dwordx4 v[58:61], v66, s[0:3], 0 offen
	buffer_load_dwordx4 v[62:65], v67, s[0:3], 0 offen
	s_lshr_b32 s15, s15, 27
	s_add_i32 s21, s21, s15
	s_ashr_i32 s23, s21, 5
	v_lshlrev_b32_e32 v211, 4, v114
	v_mul_lo_u32 v104, v103, s8
	s_add_u32 s15, 0, 0
	v_add_u32_e32 v74, v104, v211
	s_addc_u32 s14, s10, s14
	s_and_b32 s13, s13, 0xffff
	s_mov_b32 s15, s3
	v_add_u32_e32 v75, s8, v74
	buffer_load_dwordx4 v[66:69], v74, s[12:15], 0 offen
	buffer_load_dwordx4 v[70:73], v75, s[12:15], 0 offen
	v_add_u32_e32 v82, s8, v75
	v_add_u32_e32 v83, s8, v82
	buffer_load_dwordx4 v[74:77], v82, s[12:15], 0 offen
	buffer_load_dwordx4 v[78:81], v83, s[12:15], 0 offen
	v_add_u32_e32 v90, s8, v83
	;; [unrolled: 4-line block ×3, first 2 shown]
	v_add_u32_e32 v112, s8, v111
	buffer_load_dwordx4 v[90:93], v111, s[12:15], 0 offen
	buffer_load_dwordx4 v[94:97], v112, s[12:15], 0 offen
	v_lshlrev_b32_e32 v111, 1, v102
	s_movk_i32 s10, 0x200
	s_mov_b32 s21, s14
	s_movk_i32 s14, 0xd00
	v_and_b32_e32 v105, 8, v1
	v_lshrrev_b32_e32 v108, 3, v115
	s_movk_i32 s24, 0xfa00
	v_bitop3_b32 v109, v0, v108, 15 bitop3:0x6c
	s_waitcnt vmcnt(24)
	ds_write_b128 v111, v[2:5]
	v_bitop3_b32 v2, v98, v113, 1 bitop3:0x36
	v_bitop3_b32 v4, v98, v113, 2 bitop3:0x36
	v_sub_u32_e32 v3, v2, v101
	v_sub_u32_e32 v2, v4, v2
	v_lshlrev_b32_e32 v112, 3, v3
	v_lshl_add_u32 v3, v3, 4, v111
	v_lshlrev_b32_e32 v5, 3, v2
	v_lshlrev_b32_e32 v2, 4, v2
	s_waitcnt vmcnt(23)
	ds_write_b128 v3, v[6:9] offset:512
	v_add3_u32 v2, v3, s10, v2
	v_bitop3_b32 v3, v98, v113, 3 bitop3:0x36
	v_sub_u32_e32 v4, v3, v4
	v_lshlrev_b32_e32 v6, 3, v4
	v_lshlrev_b32_e32 v4, 4, v4
	s_waitcnt vmcnt(21)
	ds_write_b128 v2, v[10:13] offset:512
	v_add3_u32 v2, v2, s10, v4
	v_bitop3_b32 v4, v98, v113, 4 bitop3:0x36
	v_sub_u32_e32 v3, v4, v3
	;; [unrolled: 7-line block ×11, first 2 shown]
	v_add3_u32 v7, v5, v112, v6
	v_lshlrev_b32_e32 v17, 3, v4
	v_lshlrev_b32_e32 v4, 4, v4
	v_add3_u32 v7, v8, v7, v9
	s_waitcnt vmcnt(11)
	ds_write_b128 v2, v[50:53] offset:512
	v_add3_u32 v2, v2, s10, v4
	v_bitop3_b32 v4, v98, v113, 14 bitop3:0x36
	v_or_b32_e32 v19, 15, v1
	v_add3_u32 v7, v10, v7, v11
	v_sub_u32_e32 v3, v4, v3
	v_bitop3_b32 v19, v19, 31, v0 bitop3:0x48
	v_add3_u32 v7, v12, v7, v13
	v_lshlrev_b32_e32 v18, 3, v3
	v_sub_u32_e32 v20, v19, v4
	v_lshlrev_b32_e32 v3, 4, v3
	v_add3_u32 v7, v14, v7, v15
	s_waitcnt vmcnt(10)
	ds_write_b128 v2, v[54:57] offset:512
	v_add3_u32 v2, v2, s10, v3
	v_lshlrev_b32_e32 v3, 4, v20
	v_add3_u32 v7, v16, v7, v17
	s_waitcnt vmcnt(9)
	ds_write_b128 v2, v[58:61] offset:512
	v_add3_u32 v2, v2, s10, v3
	v_lshlrev_b32_e32 v21, 3, v20
	v_add3_u32 v7, v18, v7, s14
	s_waitcnt vmcnt(8)
	ds_write_b128 v2, v[62:65] offset:512
	v_sub_u32_e32 v2, v101, v19
	v_add3_u32 v21, v7, v102, v21
	v_lshlrev_b32_e32 v2, 3, v2
	s_movk_i32 s14, 0xf300
	v_add3_u32 v177, v21, v2, s14
	v_bitop3_b32 v2, v105, v114, 1 bitop3:0x36
	v_sub_u32_e32 v3, v2, v106
	v_lshlrev_b32_e32 v37, 4, v3
	v_add_u32_e32 v3, v107, v37
	s_waitcnt vmcnt(7)
	ds_write_b128 v107, v[66:69] offset:16384
	v_add_u32_e32 v19, 0x100, v3
	s_waitcnt vmcnt(6)
	ds_write_b128 v3, v[70:73] offset:16640
	v_bitop3_b32 v3, v105, v114, 2 bitop3:0x36
	v_sub_u32_e32 v2, v3, v2
	v_lshlrev_b32_e32 v2, 4, v2
	v_add_u32_e32 v38, 0x100, v2
	v_add_u32_e32 v20, v38, v19
	;; [unrolled: 1-line block ×3, first 2 shown]
	v_bitop3_b32 v19, v105, v114, 3 bitop3:0x36
	v_sub_u32_e32 v3, v19, v3
	v_mov_b32_e32 v21, 0x100
	v_lshl_add_u32 v39, v3, 4, v21
	v_bitop3_b32 v3, v105, v114, 4 bitop3:0x36
	v_sub_u32_e32 v19, v3, v19
	v_lshl_add_u32 v40, v19, 4, v21
	v_add3_u32 v19, v20, v39, v40
	v_bitop3_b32 v20, v105, v114, 5 bitop3:0x36
	v_sub_u32_e32 v3, v20, v3
	s_waitcnt vmcnt(5)
	ds_write_b128 v2, v[74:77] offset:16640
	v_add_u32_e32 v2, v2, v39
	v_lshl_add_u32 v41, v3, 4, v21
	v_bitop3_b32 v3, v105, v114, 6 bitop3:0x36
	s_waitcnt vmcnt(4)
	ds_write_b128 v2, v[78:81] offset:16640
	v_add_u32_e32 v2, v2, v40
	v_sub_u32_e32 v20, v3, v20
	s_waitcnt vmcnt(3)
	ds_write_b128 v2, v[82:85] offset:16640
	v_add_u32_e32 v2, v2, v41
	v_lshl_add_u32 v42, v20, 4, v21
	v_or_b32_e32 v1, 7, v1
	s_waitcnt vmcnt(2)
	ds_write_b128 v2, v[86:89] offset:16640
	v_add_u32_e32 v2, v2, v42
	v_bitop3_b32 v1, v1, 15, v0 bitop3:0x48
	v_add3_u32 v19, v19, v41, v42
	s_waitcnt vmcnt(1)
	ds_write_b128 v2, v[90:93] offset:16640
	v_sub_u32_e32 v2, v1, v3
	v_sub_u32_e32 v1, v106, v1
	v_lshl_add_u32 v2, v2, 4, v19
	v_lshlrev_b32_e32 v1, 4, v1
	s_waitcnt vmcnt(0)
	ds_write_b128 v2, v[94:97] offset:16640
	v_add3_u32 v187, v2, v1, s24
	v_bitop3_b32 v2, v108, v114, 1 bitop3:0x36
	v_sub_u32_e32 v2, v2, v109
	v_lshlrev_b32_e32 v19, 4, v2
	v_or_b32_e32 v2, 16, v115
	v_lshrrev_b32_e32 v20, 3, v2
	v_lshrrev_b32_e32 v2, 4, v2
	v_bitop3_b32 v2, v2, v0, 15 bitop3:0x78
	v_or_b32_e32 v24, 32, v115
	v_sub_u32_e32 v2, v2, v110
	v_lshlrev_b32_e32 v34, 4, v2
	v_lshrrev_b32_e32 v2, 4, v24
	v_bitop3_b32 v2, v2, v0, 15 bitop3:0x78
	v_or_b32_e32 v29, 48, v115
	v_sub_u32_e32 v2, v2, v110
	v_lshrrev_b32_e32 v25, 3, v24
	v_lshlrev_b32_e32 v24, 4, v2
	v_lshrrev_b32_e32 v2, 4, v29
	v_bitop3_b32 v2, v2, v0, 15 bitop3:0x78
	v_sub_u32_e32 v2, v2, v110
	v_lshrrev_b32_e32 v30, 3, v29
	v_lshlrev_b32_e32 v29, 4, v2
	v_bitop3_b32 v2, v114, v108, 16 bitop3:0x36
	v_sub_u32_e32 v2, v2, v109
	v_lshlrev_b32_e32 v35, 4, v2
	v_bitop3_b32 v2, v114, v20, 16 bitop3:0x36
	v_or_b32_e32 v22, 3, v108
	v_sub_u32_e32 v2, v2, v109
	v_bitop3_b32 v21, v20, v0, 15 bitop3:0x78
	v_lshlrev_b32_e32 v20, 4, v2
	v_bitop3_b32 v2, v114, v22, 16 bitop3:0x36
	v_sub_u32_e32 v2, v2, v109
	v_lshlrev_b32_e32 v22, 4, v2
	v_bitop3_b32 v2, v114, v25, 16 bitop3:0x36
	v_or_b32_e32 v27, 5, v108
	v_sub_u32_e32 v2, v2, v109
	v_bitop3_b32 v26, v25, v0, 15 bitop3:0x78
	;; [unrolled: 8-line block ×3, first 2 shown]
	v_lshlrev_b32_e32 v30, 4, v2
	v_bitop3_b32 v2, v114, v32, 16 bitop3:0x36
	v_sub_u32_e32 v2, v2, v109
	v_lshlrev_b32_e32 v32, 4, v2
	v_bitop3_b32 v2, v98, v113, 15 bitop3:0x36
	v_sub_u32_e32 v4, v2, v4
	v_lshlrev_b32_e32 v4, 3, v4
	v_sub_u32_e32 v2, v101, v2
	v_lshlrev_b32_e32 v2, 3, v2
	v_add_u32_e32 v7, v7, v4
	v_add3_u32 v2, v7, v2, s14
	scratch_store_dword off, v112, off offset:184 ; 4-byte Folded Spill
	scratch_store_dword off, v115, off offset:236 ; 4-byte Folded Spill
	;; [unrolled: 1-line block ×8, first 2 shown]
	v_add3_u32 v2, v37, v38, v39
	s_movk_i32 s15, 0x100
	v_bitop3_b32 v36, v105, v114, 7 bitop3:0x36
	v_add3_u32 v2, v2, v40, v41
	v_sub_u32_e32 v3, v36, v3
	v_add3_u32 v2, v2, v42, s15
	v_lshlrev_b32_e32 v0, 4, v3
	scratch_store_dword off, v40, off offset:200 ; 4-byte Folded Spill
	scratch_store_dword off, v41, off offset:204 ; 4-byte Folded Spill
	;; [unrolled: 1-line block ×5, first 2 shown]
	v_or_b32_e32 v2, 7, v103
	v_mul_lo_u32 v2, s8, v2
	v_add_u32_e32 v192, 0x100, v2
	v_or_b32_e32 v2, 6, v103
	v_mul_lo_u32 v2, s8, v2
	v_add_u32_e32 v193, 0x100, v2
	;; [unrolled: 3-line block ×3, first 2 shown]
	v_or_b32_e32 v2, 4, v103
	v_mul_lo_u32 v2, s8, v2
	v_sub_u32_e32 v3, v106, v36
	v_add_u32_e32 v195, 0x100, v2
	v_or_b32_e32 v2, 3, v103
	v_lshlrev_b32_e32 v3, 4, v3
	v_mul_lo_u32 v2, s8, v2
	v_add3_u32 v0, v3, v0, s24
	v_add_u32_e32 v196, 0x100, v2
	v_or_b32_e32 v2, 2, v103
	scratch_store_dword off, v0, off offset:224 ; 4-byte Folded Spill
	v_mul_lo_u32 v2, s8, v2
	v_or_b32_e32 v0, 15, v99
	v_add_u32_e32 v197, 0x100, v2
	v_mul_lo_u32 v0, s7, v0
	v_mov_b32_e32 v2, 0x200
	v_lshl_add_u32 v201, v0, 1, v2
	v_or_b32_e32 v0, 14, v99
	v_mul_lo_u32 v0, s7, v0
	v_lshl_add_u32 v202, v0, 1, v2
	v_or_b32_e32 v0, 13, v99
	v_mul_lo_u32 v0, s7, v0
	;; [unrolled: 3-line block ×12, first 2 shown]
	v_lshl_add_u32 v219, v0, 1, v2
	v_or_b32_e32 v0, 2, v99
	v_lshlrev_b32_e32 v1, 9, v114
	v_mul_lo_u32 v0, s7, v0
	v_lshl_or_b32 v185, v109, 4, v1
	v_sub_u32_e32 v21, v21, v109
	v_lshl_add_u32 v220, v0, 1, v2
	v_add_u32_e32 v0, s7, v100
	v_lshlrev_b32_e32 v21, 4, v21
	v_sub_u32_e32 v26, v26, v109
	v_bitop3_b32 v28, v108, v114, 5 bitop3:0x36
	v_lshl_add_u32 v221, v0, 1, v2
	v_add_u32_e32 v0, v185, v19
	v_lshlrev_b32_e32 v26, 4, v26
	v_sub_u32_e32 v28, v28, v109
	scratch_store_dword off, v0, off offset:160 ; 4-byte Folded Spill
	v_add_u32_e32 v0, v185, v21
	v_lshlrev_b32_e32 v28, 4, v28
	v_sub_u32_e32 v31, v31, v109
	v_bitop3_b32 v33, v108, v114, 7 bitop3:0x36
	scratch_store_dword off, v0, off offset:180 ; 4-byte Folded Spill
	v_add_u32_e32 v0, v185, v26
	v_or_b32_e32 v1, 1, v108
	v_lshlrev_b32_e32 v31, 4, v31
	v_sub_u32_e32 v33, v33, v109
	scratch_store_dword off, v0, off offset:164 ; 4-byte Folded Spill
	v_add_u32_e32 v0, v185, v28
	v_lshlrev_b32_e32 v33, 4, v33
	v_bitop3_b32 v1, v114, v1, 16 bitop3:0x36
	scratch_store_dword off, v0, off offset:168 ; 4-byte Folded Spill
	v_add_u32_e32 v0, v185, v31
	v_sub_u32_e32 v1, v1, v109
	scratch_store_dword off, v0, off offset:172 ; 4-byte Folded Spill
	v_add_u32_e32 v0, v185, v33
	v_lshlrev_b32_e32 v1, 4, v1
	scratch_store_dword off, v0, off offset:176 ; 4-byte Folded Spill
	v_add_u32_e32 v0, v185, v35
	scratch_store_dword off, v0, off offset:128 ; 4-byte Folded Spill
	v_add_u32_e32 v0, v185, v1
	;; [unrolled: 2-line block ×5, first 2 shown]
	v_bitop3_b32 v23, v108, v114, 3 bitop3:0x36
	scratch_store_dword off, v0, off offset:144 ; 4-byte Folded Spill
	v_add_u32_e32 v0, v185, v27
	v_sub_u32_e32 v23, v23, v109
	scratch_store_dword off, v0, off offset:148 ; 4-byte Folded Spill
	v_add_u32_e32 v0, v185, v30
	s_max_i32 s23, s23, 2
	v_lshlrev_b32_e32 v23, 4, v23
	v_add_u32_e32 v198, 0x100, v104
	v_lshl_add_u32 v222, v100, 1, v2
	v_mov_b32_e32 v2, 0
	scratch_store_dword off, v0, off offset:152 ; 4-byte Folded Spill
	v_add_u32_e32 v0, v185, v32
	v_add_u32_e32 v199, s8, v198
	v_lshlrev_b32_e32 v200, 4, v113
	s_add_i32 s7, s23, -1
	v_add_u32_e32 v215, v185, v23
	v_add_u32_e32 v186, v34, v210
	;; [unrolled: 1-line block ×4, first 2 shown]
	scratch_store_dword off, v0, off offset:156 ; 4-byte Folded Spill
	v_lshlrev_b32_e32 v223, 1, v5
	v_lshlrev_b32_e32 v175, 1, v6
	;; [unrolled: 1-line block ×14, first 2 shown]
	s_mov_b32 s14, s21
	s_mov_b32 s15, s3
	v_mov_b32_e32 v3, v2
	v_mov_b32_e32 v4, v2
	;; [unrolled: 1-line block ×15, first 2 shown]
.LBB1_11:                               ; =>This Inner Loop Header: Depth=1
	v_add_u32_e32 v7, v200, v222
	buffer_load_dwordx4 v[18:21], v7, s[0:3], 0 offen
	v_add_u32_e32 v8, v200, v221
                                        ; kill: killed $vgpr7
	v_add_u32_e32 v7, v200, v220
                                        ; kill: killed $vgpr8
                                        ; kill: killed $vgpr7
	v_add_u32_e32 v6, v211, v198
	s_waitcnt vmcnt(0)
	scratch_store_dwordx4 off, v[18:21], off offset:64 ; 16-byte Folded Spill
	buffer_load_dwordx4 v[18:21], v8, s[0:3], 0 offen
	v_add_u32_e32 v8, v200, v219
                                        ; kill: killed $vgpr8
	s_waitcnt vmcnt(0)
	scratch_store_dwordx4 off, v[18:21], off ; 16-byte Folded Spill
	buffer_load_dwordx4 v[18:21], v7, s[0:3], 0 offen
	v_add_u32_e32 v7, v200, v218
                                        ; kill: killed $vgpr7
	s_waitcnt vmcnt(0)
	scratch_store_dwordx4 off, v[18:21], off offset:48 ; 16-byte Folded Spill
	buffer_load_dwordx4 v[18:21], v8, s[0:3], 0 offen
	v_add_u32_e32 v8, v200, v217
                                        ; kill: killed $vgpr8
	s_waitcnt vmcnt(0)
	scratch_store_dwordx4 off, v[18:21], off offset:16 ; 16-byte Folded Spill
	buffer_load_dwordx4 v[18:21], v7, s[0:3], 0 offen
	v_add_u32_e32 v7, v200, v216
                                        ; kill: killed $vgpr7
	s_waitcnt vmcnt(0)
	scratch_store_dwordx4 off, v[18:21], off offset:80 ; 16-byte Folded Spill
	buffer_load_dwordx4 v[18:21], v8, s[0:3], 0 offen
	v_add_u32_e32 v8, v200, v213
                                        ; kill: killed $vgpr8
	s_waitcnt vmcnt(0)
	scratch_store_dwordx4 off, v[18:21], off offset:32 ; 16-byte Folded Spill
	buffer_load_dwordx4 v[18:21], v7, s[0:3], 0 offen
	v_add_u32_e32 v7, v200, v208
	s_waitcnt vmcnt(0)
	scratch_store_dwordx4 off, v[18:21], off offset:112 ; 16-byte Folded Spill
	buffer_load_dwordx4 v[18:21], v8, s[0:3], 0 offen
	v_add_u32_e32 v8, v200, v207
	s_waitcnt vmcnt(0)
	scratch_store_dwordx4 off, v[18:21], off offset:96 ; 16-byte Folded Spill
	buffer_load_dwordx4 v[54:57], v7, s[0:3], 0 offen
	buffer_load_dwordx4 v[50:53], v8, s[0:3], 0 offen
	v_add_u32_e32 v7, v200, v206
	v_add_u32_e32 v8, v200, v205
	buffer_load_dwordx4 v[62:65], v7, s[0:3], 0 offen
	buffer_load_dwordx4 v[58:61], v8, s[0:3], 0 offen
	v_add_u32_e32 v7, v200, v204
	v_add_u32_e32 v8, v200, v203
	;; [unrolled: 4-line block ×3, first 2 shown]
	buffer_load_dwordx4 v[78:81], v7, s[0:3], 0 offen
	buffer_load_dwordx4 v[74:77], v8, s[0:3], 0 offen
	v_add_u32_e32 v7, v211, v199
	buffer_load_dwordx4 v[82:85], v6, s[12:15], 0 offen
	buffer_load_dwordx4 v[86:89], v7, s[12:15], 0 offen
	v_add_u32_e32 v6, v211, v197
	v_add_u32_e32 v7, v211, v196
	buffer_load_dwordx4 v[90:93], v6, s[12:15], 0 offen
	buffer_load_dwordx4 v[94:97], v7, s[12:15], 0 offen
	v_add_u32_e32 v6, v211, v195
	;; [unrolled: 4-line block ×3, first 2 shown]
	v_add_u32_e32 v7, v211, v192
	buffer_load_dwordx4 v[106:109], v6, s[12:15], 0 offen
	buffer_load_dwordx4 v[110:113], v7, s[12:15], 0 offen
	s_waitcnt lgkmcnt(0)
	; wave barrier
	ds_read_b128 v[146:149], v210 offset:16384
	ds_read_b128 v[138:141], v185
	scratch_load_dword v6, off, off offset:180 ; 4-byte Folded Reload
	s_waitcnt vmcnt(0)
	ds_read_b128 v[134:137], v6
	ds_read_b128 v[130:133], v215
	scratch_load_dword v8, off, off offset:164 ; 4-byte Folded Reload
	scratch_load_dword v22, off, off offset:160 ; 4-byte Folded Reload
	s_waitcnt lgkmcnt(3)
	v_and_b32_e32 v6, 0xffff, v146
	v_cvt_pk_f32_fp8_e32 v[6:7], v6
	v_lshrrev_b32_e32 v18, 16, v147
	v_cvt_pk_f32_fp8_e32 v[18:19], v18
	v_and_b32_e32 v20, 0xffff, v148
	v_cvt_pkrtz_f16_f32 v142, v6, v7
	v_lshrrev_b32_e32 v6, 16, v146
	v_cvt_pk_f32_fp8_e32 v[6:7], v6
	v_cvt_pkrtz_f16_f32 v145, v18, v19
	ds_read_b128 v[154:157], v186 offset:16384
	ds_read_b128 v[238:241], v186 offset:20480
	v_cvt_pkrtz_f16_f32 v143, v6, v7
	v_lshrrev_b32_e32 v6, 16, v148
	v_lshrrev_b32_e32 v18, 16, v149
	v_cvt_pk_f32_fp8_e32 v[20:21], v20
	v_cvt_pk_f32_fp8_e32 v[6:7], v6
	;; [unrolled: 1-line block ×3, first 2 shown]
	ds_read_b128 v[250:253], v176 offset:16384
	v_cvt_pkrtz_f16_f32 v146, v20, v21
	s_waitcnt lgkmcnt(2)
	v_and_b32_e32 v20, 0xffff, v154
	v_cvt_pk_f32_fp8_e32 v[20:21], v20
	ds_read_b128 v[166:169], v176 offset:20480
	ds_read_b128 v[242:245], v179 offset:16384
	;; [unrolled: 1-line block ×3, first 2 shown]
	v_cvt_pkrtz_f16_f32 v150, v20, v21
	v_and_b32_e32 v20, 0xffff, v156
	v_cvt_pk_f32_fp8_e32 v[20:21], v20
	s_waitcnt vmcnt(1)
	ds_read_b128 v[126:129], v8
	scratch_load_dword v8, off, off offset:168 ; 4-byte Folded Reload
	s_waitcnt vmcnt(0)
	ds_read_b128 v[122:125], v8
	scratch_load_dword v8, off, off offset:172 ; 4-byte Folded Reload
	;; [unrolled: 3-line block ×3, first 2 shown]
	s_waitcnt vmcnt(0)
	ds_read_b128 v[114:117], v8
	v_and_b32_e32 v8, 0xffff, v147
	v_cvt_pk_f32_fp8_e32 v[8:9], v8
	v_cvt_pkrtz_f16_f32 v147, v6, v7
	v_lshrrev_b32_e32 v6, 16, v154
	v_cvt_pk_f32_fp8_e32 v[6:7], v6
	v_cvt_pkrtz_f16_f32 v144, v8, v9
	v_and_b32_e32 v8, 0xffff, v149
	v_cvt_pk_f32_fp8_e32 v[8:9], v8
	v_cvt_pkrtz_f16_f32 v149, v18, v19
	v_lshrrev_b32_e32 v18, 16, v155
	v_cvt_pk_f32_fp8_e32 v[18:19], v18
	v_cvt_pkrtz_f16_f32 v148, v8, v9
	v_and_b32_e32 v8, 0xffff, v155
	v_cvt_pk_f32_fp8_e32 v[8:9], v8
	v_cvt_pkrtz_f16_f32 v151, v6, v7
	v_cvt_pkrtz_f16_f32 v153, v18, v19
	v_lshrrev_b32_e32 v6, 16, v156
	v_cvt_pkrtz_f16_f32 v152, v8, v9
	v_and_b32_e32 v8, 0xffff, v157
	v_lshrrev_b32_e32 v18, 16, v157
	v_cvt_pk_f32_fp8_e32 v[6:7], v6
	v_cvt_pk_f32_fp8_e32 v[8:9], v8
	;; [unrolled: 1-line block ×3, first 2 shown]
	v_cvt_pkrtz_f16_f32 v154, v20, v21
	s_waitcnt lgkmcnt(5)
	v_and_b32_e32 v20, 0xffff, v242
	v_cvt_pkrtz_f16_f32 v155, v6, v7
	v_cvt_pkrtz_f16_f32 v156, v8, v9
	;; [unrolled: 1-line block ×3, first 2 shown]
	v_lshrrev_b32_e32 v6, 16, v242
	v_and_b32_e32 v8, 0xffff, v243
	v_lshrrev_b32_e32 v18, 16, v243
	v_cvt_pk_f32_fp8_e32 v[20:21], v20
	v_cvt_pk_f32_fp8_e32 v[6:7], v6
	;; [unrolled: 1-line block ×4, first 2 shown]
	v_cvt_pkrtz_f16_f32 v158, v20, v21
	v_and_b32_e32 v20, 0xffff, v244
	v_cvt_pkrtz_f16_f32 v159, v6, v7
	v_cvt_pkrtz_f16_f32 v160, v8, v9
	;; [unrolled: 1-line block ×3, first 2 shown]
	v_lshrrev_b32_e32 v6, 16, v244
	v_and_b32_e32 v8, 0xffff, v245
	v_lshrrev_b32_e32 v18, 16, v245
	v_cvt_pk_f32_fp8_e32 v[20:21], v20
	v_cvt_pk_f32_fp8_e32 v[6:7], v6
	;; [unrolled: 1-line block ×4, first 2 shown]
	v_cvt_pkrtz_f16_f32 v242, v20, v21
	v_cvt_pkrtz_f16_f32 v243, v6, v7
	;; [unrolled: 1-line block ×4, first 2 shown]
	v_and_b32_e32 v6, 0xffff, v250
	v_lshrrev_b32_e32 v8, 16, v250
	v_and_b32_e32 v18, 0xffff, v251
	v_lshrrev_b32_e32 v20, 16, v251
	v_cvt_pk_f32_fp8_e32 v[6:7], v6
	v_cvt_pk_f32_fp8_e32 v[8:9], v8
	;; [unrolled: 1-line block ×4, first 2 shown]
	v_cvt_pkrtz_f16_f32 v170, v6, v7
	v_cvt_pkrtz_f16_f32 v171, v8, v9
	;; [unrolled: 1-line block ×4, first 2 shown]
	v_and_b32_e32 v6, 0xffff, v252
	v_lshrrev_b32_e32 v8, 16, v252
	v_and_b32_e32 v18, 0xffff, v253
	v_lshrrev_b32_e32 v20, 16, v253
	ds_read_b128 v[250:253], v22
	ds_read_b128 v[180:183], v210 offset:20480
	v_cvt_pk_f32_fp8_e32 v[6:7], v6
	v_cvt_pk_f32_fp8_e32 v[18:19], v18
	;; [unrolled: 1-line block ×4, first 2 shown]
	v_cvt_pkrtz_f16_f32 v188, v6, v7
	v_cvt_pkrtz_f16_f32 v190, v18, v19
	s_waitcnt lgkmcnt(0)
	v_and_b32_e32 v6, 0xffff, v180
	v_and_b32_e32 v18, 0xffff, v181
	v_cvt_pk_f32_fp8_e32 v[6:7], v6
	v_cvt_pk_f32_fp8_e32 v[18:19], v18
	v_cvt_pkrtz_f16_f32 v189, v8, v9
	v_lshrrev_b32_e32 v8, 16, v180
	v_cvt_pkrtz_f16_f32 v224, v6, v7
	v_cvt_pkrtz_f16_f32 v226, v18, v19
	v_and_b32_e32 v6, 0xffff, v182
	v_and_b32_e32 v18, 0xffff, v183
	v_cvt_pk_f32_fp8_e32 v[8:9], v8
	v_cvt_pk_f32_fp8_e32 v[6:7], v6
	;; [unrolled: 1-line block ×3, first 2 shown]
	v_cvt_pkrtz_f16_f32 v191, v20, v21
	v_cvt_pkrtz_f16_f32 v225, v8, v9
	v_lshrrev_b32_e32 v8, 16, v182
	v_cvt_pkrtz_f16_f32 v180, v6, v7
	v_cvt_pkrtz_f16_f32 v182, v18, v19
	v_and_b32_e32 v6, 0xffff, v238
	v_and_b32_e32 v18, 0xffff, v239
	v_cvt_pk_f32_fp8_e32 v[8:9], v8
	v_cvt_pk_f32_fp8_e32 v[6:7], v6
	;; [unrolled: 1-line block ×3, first 2 shown]
	v_lshrrev_b32_e32 v20, 16, v181
	v_cvt_pkrtz_f16_f32 v181, v8, v9
	v_lshrrev_b32_e32 v8, 16, v238
	v_cvt_pkrtz_f16_f32 v228, v6, v7
	v_cvt_pkrtz_f16_f32 v230, v18, v19
	v_and_b32_e32 v6, 0xffff, v240
	v_and_b32_e32 v18, 0xffff, v241
	v_cvt_pk_f32_fp8_e32 v[20:21], v20
	v_cvt_pk_f32_fp8_e32 v[8:9], v8
	v_cvt_pk_f32_fp8_e32 v[6:7], v6
	v_cvt_pk_f32_fp8_e32 v[18:19], v18
	v_cvt_pkrtz_f16_f32 v227, v20, v21
	v_lshrrev_b32_e32 v20, 16, v183
	v_cvt_pkrtz_f16_f32 v229, v8, v9
	v_lshrrev_b32_e32 v8, 16, v240
	v_cvt_pkrtz_f16_f32 v238, v6, v7
	v_cvt_pkrtz_f16_f32 v240, v18, v19
	v_and_b32_e32 v6, 0xffff, v246
	v_and_b32_e32 v18, 0xffff, v247
	v_cvt_pk_f32_fp8_e32 v[20:21], v20
	v_cvt_pk_f32_fp8_e32 v[8:9], v8
	v_cvt_pk_f32_fp8_e32 v[6:7], v6
	v_cvt_pk_f32_fp8_e32 v[18:19], v18
	v_cvt_pkrtz_f16_f32 v183, v20, v21
	v_lshrrev_b32_e32 v20, 16, v239
	v_cvt_pkrtz_f16_f32 v239, v8, v9
	v_lshrrev_b32_e32 v8, 16, v246
	v_cvt_pkrtz_f16_f32 v232, v6, v7
	v_cvt_pkrtz_f16_f32 v234, v18, v19
	v_and_b32_e32 v6, 0xffff, v248
	v_and_b32_e32 v18, 0xffff, v249
	v_cvt_pk_f32_fp8_e32 v[20:21], v20
	v_cvt_pk_f32_fp8_e32 v[8:9], v8
	v_cvt_pk_f32_fp8_e32 v[6:7], v6
	v_cvt_pk_f32_fp8_e32 v[18:19], v18
	v_cvt_pkrtz_f16_f32 v231, v20, v21
	v_lshrrev_b32_e32 v20, 16, v241
	v_cvt_pkrtz_f16_f32 v233, v8, v9
	v_lshrrev_b32_e32 v8, 16, v248
	v_cvt_pkrtz_f16_f32 v246, v6, v7
	v_cvt_pkrtz_f16_f32 v248, v18, v19
	v_and_b32_e32 v6, 0xffff, v166
	v_and_b32_e32 v18, 0xffff, v167
	v_cvt_pk_f32_fp8_e32 v[20:21], v20
	v_cvt_pk_f32_fp8_e32 v[8:9], v8
	v_cvt_pk_f32_fp8_e32 v[6:7], v6
	v_cvt_pk_f32_fp8_e32 v[18:19], v18
	v_cvt_pkrtz_f16_f32 v241, v20, v21
	v_lshrrev_b32_e32 v20, 16, v247
	v_cvt_pkrtz_f16_f32 v247, v8, v9
	v_lshrrev_b32_e32 v8, 16, v166
	v_cvt_pkrtz_f16_f32 v162, v6, v7
	v_cvt_pkrtz_f16_f32 v164, v18, v19
	v_and_b32_e32 v6, 0xffff, v168
	v_and_b32_e32 v18, 0xffff, v169
	v_cvt_pk_f32_fp8_e32 v[8:9], v8
	v_cvt_pk_f32_fp8_e32 v[6:7], v6
	;; [unrolled: 1-line block ×3, first 2 shown]
	scratch_load_dword v22, off, off offset:136 ; 4-byte Folded Reload
	scratch_load_dword v26, off, off offset:140 ; 4-byte Folded Reload
	;; [unrolled: 1-line block ×6, first 2 shown]
	v_cvt_pkrtz_f16_f32 v163, v8, v9
	v_lshrrev_b32_e32 v8, 16, v168
	v_cvt_pkrtz_f16_f32 v166, v6, v7
	v_cvt_pkrtz_f16_f32 v168, v18, v19
	scratch_load_dword v6, off, off offset:128 ; 4-byte Folded Reload
	scratch_load_dword v18, off, off offset:132 ; 4-byte Folded Reload
	v_cvt_pk_f32_fp8_e32 v[20:21], v20
	v_cvt_pk_f32_fp8_e32 v[8:9], v8
	v_cvt_pkrtz_f16_f32 v235, v20, v21
	v_lshrrev_b32_e32 v20, 16, v249
	v_cvt_pk_f32_fp8_e32 v[20:21], v20
	v_cvt_pkrtz_f16_f32 v249, v20, v21
	v_lshrrev_b32_e32 v20, 16, v167
	v_cvt_pk_f32_fp8_e32 v[20:21], v20
	v_cvt_pkrtz_f16_f32 v167, v8, v9
	v_cvt_pkrtz_f16_f32 v165, v20, v21
	v_lshrrev_b32_e32 v20, 16, v169
	v_cvt_pk_f32_fp8_e32 v[20:21], v20
	v_cvt_pkrtz_f16_f32 v169, v20, v21
	s_waitcnt vmcnt(7)
	ds_read_b128 v[22:25], v22 offset:8192
	s_waitcnt vmcnt(6)
	ds_read_b128 v[26:29], v26 offset:8192
	;; [unrolled: 2-line block ×8, first 2 shown]
	; sched_barrier mask(0x00000000)
	; wave barrier
	; sched_barrier mask(0x00000000)
	v_mfma_f32_16x16x32_f16 v[14:17], v[138:141], v[142:145], v[14:17]
	v_mfma_f32_16x16x32_f16 v[14:17], v[250:253], v[146:149], v[14:17]
	; sched_barrier mask(0x00000000)
	s_setprio 1
	; sched_barrier mask(0x00000000)
	v_mfma_f32_16x16x32_f16 v[10:13], v[138:141], v[224:227], v[10:13]
	v_mfma_f32_16x16x32_f16 v[10:13], v[250:253], v[180:183], v[10:13]
	s_waitcnt lgkmcnt(1)
	v_mfma_f32_16x16x32_f16 v[46:49], v[6:9], v[142:145], v[46:49]
	v_mfma_f32_16x16x32_f16 v[2:5], v[6:9], v[224:227], v[2:5]
	;; [unrolled: 1-line block ×3, first 2 shown]
	s_waitcnt lgkmcnt(0)
	v_mfma_f32_16x16x32_f16 v[46:49], v[18:21], v[146:149], v[46:49]
	v_mfma_f32_16x16x32_f16 v[6:9], v[130:133], v[154:157], v[6:9]
	v_mfma_f32_16x16x32_f16 v[10:13], v[134:137], v[228:231], v[10:13]
	v_mfma_f32_16x16x32_f16 v[10:13], v[130:133], v[238:241], v[10:13]
	v_mfma_f32_16x16x32_f16 v[14:17], v[22:25], v[150:153], v[46:49]
	v_mfma_f32_16x16x32_f16 v[6:9], v[126:129], v[158:161], v[6:9]
	v_mfma_f32_16x16x32_f16 v[2:5], v[18:21], v[180:183], v[2:5]
	v_mfma_f32_16x16x32_f16 v[14:17], v[26:29], v[154:157], v[14:17]
	v_mfma_f32_16x16x32_f16 v[6:9], v[122:125], v[242:245], v[6:9]
	v_mfma_f32_16x16x32_f16 v[10:13], v[126:129], v[232:235], v[10:13]
	v_mfma_f32_16x16x32_f16 v[2:5], v[22:25], v[228:231], v[2:5]
	v_mfma_f32_16x16x32_f16 v[10:13], v[122:125], v[246:249], v[10:13]
	v_mfma_f32_16x16x32_f16 v[14:17], v[30:33], v[158:161], v[14:17]
	v_mfma_f32_16x16x32_f16 v[6:9], v[118:121], v[170:173], v[6:9]
	v_mfma_f32_16x16x32_f16 v[2:5], v[26:29], v[238:241], v[2:5]
	v_mfma_f32_16x16x32_f16 v[18:21], v[34:37], v[242:245], v[14:17]
	v_mfma_f32_16x16x32_f16 v[14:17], v[114:117], v[188:191], v[6:9]
	v_mfma_f32_16x16x32_f16 v[6:9], v[118:121], v[162:165], v[10:13]
	v_mfma_f32_16x16x32_f16 v[2:5], v[30:33], v[232:235], v[2:5]
	v_mfma_f32_16x16x32_f16 v[10:13], v[114:117], v[166:169], v[6:9]
	v_mfma_f32_16x16x32_f16 v[6:9], v[38:41], v[170:173], v[18:21]
	v_mfma_f32_16x16x32_f16 v[2:5], v[34:37], v[246:249], v[2:5]
	v_mfma_f32_16x16x32_f16 v[46:49], v[42:45], v[188:191], v[6:9]
	; sched_barrier mask(0x00000000)
	s_waitcnt lgkmcnt(0)
	; wave barrier
	; sched_barrier mask(0x00000000)
	v_mfma_f32_16x16x32_f16 v[2:5], v[38:41], v[162:165], v[2:5]
	v_mfma_f32_16x16x32_f16 v[2:5], v[42:45], v[166:169], v[2:5]
	; sched_barrier mask(0x00000000)
	s_setprio 0
	; sched_barrier mask(0x00000000)
	s_nop 1
	scratch_load_dword v7, off, off offset:216 ; 4-byte Folded Reload
	scratch_load_dwordx4 v[18:21], off, off offset:64 ; 16-byte Folded Reload
	v_lshlrev_b32_e32 v6, 1, v177
	scratch_load_dword v9, off, off offset:184 ; 4-byte Folded Reload
	s_add_i32 s7, s7, -1
	v_add_u32_e32 v192, 0x100, v192
	v_add_u32_e32 v193, 0x100, v193
	;; [unrolled: 1-line block ×24, first 2 shown]
	s_cmp_lg_u32 s7, 0
	scratch_load_dword v8, off, off offset:220 ; 4-byte Folded Reload
	s_waitcnt vmcnt(3)
	v_add_u32_e32 v177, v177, v7
	s_waitcnt vmcnt(2)
	ds_write_b128 v6, v[18:21]
	scratch_load_dword v18, off, off offset:212 ; 4-byte Folded Reload
	scratch_load_dwordx4 v[20:23], off, off ; 16-byte Folded Reload
	s_waitcnt vmcnt(3)
	v_lshl_add_u32 v6, v9, 1, v6
	scratch_load_dword v19, off, off offset:196 ; 4-byte Folded Reload
	scratch_load_dword v7, off, off offset:188 ; 4-byte Folded Reload
	;; [unrolled: 1-line block ×3, first 2 shown]
	s_waitcnt vmcnt(5)
	v_add_u32_e32 v8, v187, v8
	s_waitcnt vmcnt(4)
	v_add_u32_e32 v18, v18, v8
	s_waitcnt vmcnt(3)
	ds_write_b128 v6, v[20:23] offset:512
	scratch_load_dwordx4 v[20:23], off, off offset:48 ; 16-byte Folded Reload
	v_add3_u32 v6, v6, s10, v223
	s_waitcnt vmcnt(0)
	ds_write_b128 v6, v[20:23] offset:512
	scratch_load_dwordx4 v[22:25], off, off offset:16 ; 16-byte Folded Reload
	v_add3_u32 v6, v6, s10, v175
	scratch_load_dword v20, off, off offset:200 ; 4-byte Folded Reload
	scratch_load_dword v21, off, off offset:204 ; 4-byte Folded Reload
	v_add_u32_e32 v7, v187, v7
	s_waitcnt vmcnt(2)
	ds_write_b128 v6, v[22:25] offset:512
	scratch_load_dwordx4 v[22:25], off, off offset:80 ; 16-byte Folded Reload
	v_add3_u32 v6, v6, s10, v178
	s_waitcnt vmcnt(0)
	ds_write_b128 v6, v[22:25] offset:512
	scratch_load_dwordx4 v[24:27], off, off offset:32 ; 16-byte Folded Reload
	v_add3_u32 v6, v6, s10, v0
	scratch_load_dword v22, off, off offset:208 ; 4-byte Folded Reload
	v_add_u32_e32 v9, v7, v9
	v_add_u32_e32 v19, v9, v19
	;; [unrolled: 1-line block ×3, first 2 shown]
	s_waitcnt vmcnt(1)
	ds_write_b128 v6, v[24:27] offset:512
	scratch_load_dwordx4 v[24:27], off, off offset:112 ; 16-byte Folded Reload
	v_add3_u32 v6, v6, s10, v1
	s_waitcnt vmcnt(0)
	ds_write_b128 v6, v[24:27] offset:512
	scratch_load_dwordx4 v[24:27], off, off offset:96 ; 16-byte Folded Reload
	v_add3_u32 v6, v6, s10, v212
	v_add_u32_e32 v21, v20, v21
	v_add_u32_e32 v22, v21, v22
	s_waitcnt vmcnt(0)
	ds_write_b128 v6, v[24:27] offset:512
	v_add3_u32 v6, v6, s10, v214
	ds_write_b128 v6, v[54:57] offset:512
	v_add3_u32 v6, v6, s10, v184
	;; [unrolled: 2-line block ×8, first 2 shown]
	ds_write_b128 v6, v[74:77] offset:512
	ds_write_b128 v187, v[82:85] offset:16384
	ds_write_b128 v7, v[86:89] offset:16640
	ds_write_b128 v9, v[90:93] offset:16640
	ds_write_b128 v19, v[94:97] offset:16640
	ds_write_b128 v20, v[98:101] offset:16640
	ds_write_b128 v21, v[102:105] offset:16640
	ds_write_b128 v22, v[106:109] offset:16640
	ds_write_b128 v18, v[110:113] offset:16640
	scratch_load_dword v6, off, off offset:224 ; 4-byte Folded Reload
	s_waitcnt vmcnt(0)
	v_add_u32_e32 v187, v8, v6
	s_cbranch_scc1 .LBB1_11
; %bb.12:
	s_waitcnt lgkmcnt(0)
	; wave barrier
	ds_read_b128 v[38:41], v185
	ds_read_b128 v[50:53], v210 offset:16384
	scratch_load_dword v0, off, off offset:180 ; 4-byte Folded Reload
	s_lshl_b64 s[0:1], s[18:19], 1
	s_add_u32 s12, s16, s0
	s_mul_i32 s0, s20, s9
	s_waitcnt lgkmcnt(0)
	v_and_b32_e32 v43, 0xffff, v51
	v_cvt_pk_f32_fp8_e32 v[44:45], v43
	v_lshrrev_b32_e32 v43, 16, v51
	s_mul_hi_u32 s2, 0, s9
	s_addc_u32 s13, s17, s1
	v_cvt_pkrtz_f16_f32 v44, v44, v45
	s_add_i32 s2, s2, s0
	s_waitcnt vmcnt(0)
	ds_read_b128 v[34:37], v0
	ds_read_b128 v[30:33], v215
	scratch_load_dword v6, off, off offset:164 ; 4-byte Folded Reload
	v_and_b32_e32 v0, 0xffff, v50
	v_cvt_pk_f32_fp8_e32 v[0:1], v0
	ds_read_b128 v[58:61], v186 offset:16384
	ds_read_b128 v[70:73], v179 offset:16384
	ds_read_b128 v[74:77], v179 offset:20480
	v_cvt_pkrtz_f16_f32 v42, v0, v1
	v_lshrrev_b32_e32 v0, 16, v50
	v_cvt_pk_f32_fp8_e32 v[50:51], v43
	v_and_b32_e32 v43, 0xffff, v52
	v_cvt_pk_f32_fp8_e32 v[54:55], v43
	v_cvt_pk_f32_fp8_e32 v[0:1], v0
	v_cvt_pkrtz_f16_f32 v45, v50, v51
	v_and_b32_e32 v51, 0xffff, v53
	v_cvt_pkrtz_f16_f32 v50, v54, v55
	v_cvt_pk_f32_fp8_e32 v[54:55], v51
	v_lshrrev_b32_e32 v51, 16, v53
	v_cvt_pkrtz_f16_f32 v43, v0, v1
	v_lshrrev_b32_e32 v0, 16, v52
	v_cvt_pk_f32_fp8_e32 v[56:57], v51
	v_cvt_pk_f32_fp8_e32 v[0:1], v0
	s_waitcnt lgkmcnt(2)
	v_and_b32_e32 v51, 0xffff, v58
	v_cvt_pk_f32_fp8_e32 v[62:63], v51
	v_cvt_pkrtz_f16_f32 v52, v54, v55
	v_and_b32_e32 v55, 0xffff, v59
	v_cvt_pkrtz_f16_f32 v53, v56, v57
	v_cvt_pk_f32_fp8_e32 v[56:57], v55
	v_lshrrev_b32_e32 v55, 16, v59
	v_cvt_pkrtz_f16_f32 v51, v0, v1
	v_lshrrev_b32_e32 v0, 16, v58
	v_cvt_pk_f32_fp8_e32 v[58:59], v55
	v_and_b32_e32 v55, 0xffff, v60
	v_cvt_pkrtz_f16_f32 v54, v62, v63
	v_cvt_pk_f32_fp8_e32 v[62:63], v55
	v_cvt_pk_f32_fp8_e32 v[0:1], v0
	v_cvt_pkrtz_f16_f32 v56, v56, v57
	v_cvt_pkrtz_f16_f32 v57, v58, v59
	v_and_b32_e32 v59, 0xffff, v61
	v_cvt_pkrtz_f16_f32 v58, v62, v63
	v_cvt_pk_f32_fp8_e32 v[62:63], v59
	v_lshrrev_b32_e32 v59, 16, v61
	v_cvt_pkrtz_f16_f32 v55, v0, v1
	v_lshrrev_b32_e32 v0, 16, v60
	v_cvt_pk_f32_fp8_e32 v[64:65], v59
	v_cvt_pk_f32_fp8_e32 v[0:1], v0
	s_waitcnt lgkmcnt(1)
	v_and_b32_e32 v59, 0xffff, v70
	v_cvt_pk_f32_fp8_e32 v[78:79], v59
	v_cvt_pkrtz_f16_f32 v60, v62, v63
	v_and_b32_e32 v63, 0xffff, v71
	v_cvt_pkrtz_f16_f32 v61, v64, v65
	v_cvt_pk_f32_fp8_e32 v[64:65], v63
	v_lshrrev_b32_e32 v63, 16, v71
	v_cvt_pkrtz_f16_f32 v59, v0, v1
	v_lshrrev_b32_e32 v0, 16, v70
	v_cvt_pk_f32_fp8_e32 v[70:71], v63
	v_and_b32_e32 v63, 0xffff, v72
	v_cvt_pkrtz_f16_f32 v62, v78, v79
	v_cvt_pk_f32_fp8_e32 v[0:1], v0
	v_cvt_pk_f32_fp8_e32 v[78:79], v63
	v_cvt_pkrtz_f16_f32 v64, v64, v65
	v_cvt_pkrtz_f16_f32 v65, v70, v71
	;; [unrolled: 1-line block ×4, first 2 shown]
	v_lshrrev_b32_e32 v0, 16, v72
	ds_read_b128 v[78:81], v176 offset:16384
	v_cvt_pk_f32_fp8_e32 v[0:1], v0
	v_and_b32_e32 v71, 0xffff, v73
	v_cvt_pk_f32_fp8_e32 v[82:83], v71
	v_lshrrev_b32_e32 v71, 16, v73
	v_cvt_pk_f32_fp8_e32 v[84:85], v71
	v_cvt_pkrtz_f16_f32 v71, v0, v1
	s_waitcnt lgkmcnt(0)
	v_and_b32_e32 v0, 0xffff, v78
	v_lshrrev_b32_e32 v78, 16, v78
	v_cvt_pk_f32_fp8_e32 v[88:89], v78
	v_and_b32_e32 v78, 0xffff, v79
	v_cvt_pk_f32_fp8_e32 v[90:91], v78
	v_lshrrev_b32_e32 v78, 16, v79
	v_cvt_pk_f32_fp8_e32 v[78:79], v78
	v_cvt_pkrtz_f16_f32 v87, v88, v89
	v_cvt_pkrtz_f16_f32 v72, v82, v83
	;; [unrolled: 1-line block ×4, first 2 shown]
	v_lshrrev_b32_e32 v78, 16, v80
	v_cvt_pk_f32_fp8_e32 v[96:97], v78
	v_and_b32_e32 v78, 0xffff, v81
	v_cvt_pk_f32_fp8_e32 v[98:99], v78
	v_lshrrev_b32_e32 v78, 16, v81
	ds_read_b128 v[82:85], v176 offset:20480
	v_cvt_pk_f32_fp8_e32 v[100:101], v78
	scratch_load_dword v78, off, off offset:160 ; 4-byte Folded Reload
	s_waitcnt vmcnt(1)
	ds_read_b128 v[26:29], v6
	scratch_load_dword v6, off, off offset:168 ; 4-byte Folded Reload
	v_cvt_pk_f32_fp8_e32 v[0:1], v0
	v_cvt_pkrtz_f16_f32 v88, v90, v91
	v_cvt_pkrtz_f16_f32 v95, v96, v97
	;; [unrolled: 1-line block ×4, first 2 shown]
	v_and_b32_e32 v0, 0xffff, v80
	v_cvt_pk_f32_fp8_e32 v[0:1], v0
	v_cvt_pkrtz_f16_f32 v96, v98, v99
	ds_read_b128 v[66:69], v186 offset:20480
	v_cvt_pkrtz_f16_f32 v94, v0, v1
	s_waitcnt vmcnt(0)
	ds_read_b128 v[22:25], v6
	scratch_load_dword v6, off, off offset:172 ; 4-byte Folded Reload
	s_waitcnt vmcnt(0)
	ds_read_b128 v[18:21], v6
	scratch_load_dword v6, off, off offset:176 ; 4-byte Folded Reload
	s_waitcnt vmcnt(0)
	ds_read_b128 v[6:9], v6
	ds_read_b128 v[78:81], v78
	ds_read_b128 v[90:93], v210 offset:20480
	scratch_load_dword v118, off, off offset:136 ; 4-byte Folded Reload
	scratch_load_dword v122, off, off offset:140 ; 4-byte Folded Reload
	;; [unrolled: 1-line block ×6, first 2 shown]
	s_waitcnt lgkmcnt(0)
	v_and_b32_e32 v0, 0xffff, v90
	v_lshrrev_b32_e32 v90, 16, v90
	v_cvt_pk_f32_fp8_e32 v[100:101], v90
	v_and_b32_e32 v90, 0xffff, v91
	v_cvt_pk_f32_fp8_e32 v[102:103], v90
	v_lshrrev_b32_e32 v90, 16, v91
	v_cvt_pk_f32_fp8_e32 v[0:1], v0
	v_cvt_pk_f32_fp8_e32 v[90:91], v90
	v_cvt_pkrtz_f16_f32 v99, v100, v101
	v_cvt_pkrtz_f16_f32 v100, v102, v103
	;; [unrolled: 1-line block ×4, first 2 shown]
	v_and_b32_e32 v0, 0xffff, v92
	v_lshrrev_b32_e32 v90, 16, v92
	v_cvt_pk_f32_fp8_e32 v[0:1], v0
	v_cvt_pk_f32_fp8_e32 v[102:103], v90
	v_and_b32_e32 v90, 0xffff, v93
	v_cvt_pk_f32_fp8_e32 v[104:105], v90
	v_lshrrev_b32_e32 v90, 16, v93
	v_cvt_pk_f32_fp8_e32 v[106:107], v90
	v_cvt_pkrtz_f16_f32 v90, v0, v1
	v_and_b32_e32 v0, 0xffff, v66
	v_lshrrev_b32_e32 v66, 16, v66
	v_cvt_pkrtz_f16_f32 v92, v104, v105
	v_cvt_pk_f32_fp8_e32 v[104:105], v66
	v_and_b32_e32 v66, 0xffff, v67
	v_cvt_pkrtz_f16_f32 v93, v106, v107
	v_cvt_pk_f32_fp8_e32 v[106:107], v66
	v_lshrrev_b32_e32 v66, 16, v67
	v_cvt_pk_f32_fp8_e32 v[0:1], v0
	v_cvt_pk_f32_fp8_e32 v[66:67], v66
	v_cvt_pkrtz_f16_f32 v91, v102, v103
	v_cvt_pkrtz_f16_f32 v103, v104, v105
	;; [unrolled: 1-line block ×4, first 2 shown]
	v_and_b32_e32 v0, 0xffff, v68
	v_lshrrev_b32_e32 v66, 16, v68
	v_cvt_pkrtz_f16_f32 v104, v106, v107
	v_cvt_pk_f32_fp8_e32 v[0:1], v0
	v_cvt_pk_f32_fp8_e32 v[106:107], v66
	v_and_b32_e32 v66, 0xffff, v69
	v_cvt_pk_f32_fp8_e32 v[108:109], v66
	v_lshrrev_b32_e32 v66, 16, v69
	v_cvt_pk_f32_fp8_e32 v[110:111], v66
	v_cvt_pkrtz_f16_f32 v66, v0, v1
	v_and_b32_e32 v0, 0xffff, v74
	v_lshrrev_b32_e32 v74, 16, v74
	v_cvt_pkrtz_f16_f32 v68, v108, v109
	v_cvt_pk_f32_fp8_e32 v[108:109], v74
	v_and_b32_e32 v74, 0xffff, v75
	v_cvt_pkrtz_f16_f32 v69, v110, v111
	v_cvt_pk_f32_fp8_e32 v[110:111], v74
	v_lshrrev_b32_e32 v74, 16, v75
	v_cvt_pk_f32_fp8_e32 v[0:1], v0
	v_cvt_pk_f32_fp8_e32 v[74:75], v74
	v_cvt_pkrtz_f16_f32 v67, v106, v107
	v_cvt_pkrtz_f16_f32 v107, v108, v109
	;; [unrolled: 1-line block ×4, first 2 shown]
	v_and_b32_e32 v0, 0xffff, v76
	v_lshrrev_b32_e32 v74, 16, v76
	v_cvt_pkrtz_f16_f32 v108, v110, v111
	v_cvt_pk_f32_fp8_e32 v[0:1], v0
	v_cvt_pk_f32_fp8_e32 v[110:111], v74
	v_and_b32_e32 v74, 0xffff, v77
	v_cvt_pk_f32_fp8_e32 v[112:113], v74
	v_lshrrev_b32_e32 v74, 16, v77
	v_cvt_pk_f32_fp8_e32 v[114:115], v74
	v_cvt_pkrtz_f16_f32 v74, v0, v1
	v_and_b32_e32 v0, 0xffff, v82
	v_lshrrev_b32_e32 v82, 16, v82
	v_cvt_pkrtz_f16_f32 v76, v112, v113
	v_cvt_pk_f32_fp8_e32 v[112:113], v82
	v_and_b32_e32 v82, 0xffff, v83
	v_cvt_pkrtz_f16_f32 v77, v114, v115
	v_cvt_pk_f32_fp8_e32 v[114:115], v82
	v_lshrrev_b32_e32 v82, 16, v83
	v_cvt_pk_f32_fp8_e32 v[82:83], v82
	v_cvt_pkrtz_f16_f32 v75, v110, v111
	v_cvt_pkrtz_f16_f32 v111, v112, v113
	;; [unrolled: 1-line block ×4, first 2 shown]
	v_lshrrev_b32_e32 v82, 16, v84
	v_cvt_pk_f32_fp8_e32 v[144:145], v82
	v_and_b32_e32 v82, 0xffff, v85
	v_cvt_pk_f32_fp8_e32 v[146:147], v82
	v_lshrrev_b32_e32 v82, 16, v85
	v_cvt_pk_f32_fp8_e32 v[148:149], v82
	scratch_load_dword v82, off, off offset:128 ; 4-byte Folded Reload
	scratch_load_dword v114, off, off offset:132 ; 4-byte Folded Reload
	v_cvt_pk_f32_fp8_e32 v[0:1], v0
	v_cvt_pkrtz_f16_f32 v143, v144, v145
	v_cvt_pkrtz_f16_f32 v144, v146, v147
	;; [unrolled: 1-line block ×4, first 2 shown]
	v_and_b32_e32 v0, 0xffff, v84
	v_cvt_pk_f32_fp8_e32 v[0:1], v0
	s_waitcnt vmcnt(7)
	ds_read_b128 v[118:121], v118 offset:8192
	s_waitcnt vmcnt(6)
	ds_read_b128 v[122:125], v122 offset:8192
	;; [unrolled: 2-line block ×6, first 2 shown]
	v_cvt_pkrtz_f16_f32 v142, v0, v1
	s_waitcnt vmcnt(1)
	ds_read_b128 v[82:85], v82 offset:8192
	s_waitcnt vmcnt(0)
	ds_read_b128 v[114:117], v114 offset:8192
	; sched_barrier mask(0x00000000)
	; wave barrier
	; sched_barrier mask(0x00000000)
	v_mfma_f32_16x16x32_f16 v[14:17], v[38:41], v[42:45], v[14:17]
	v_mfma_f32_16x16x32_f16 v[14:17], v[78:81], v[50:53], v[14:17]
	; sched_barrier mask(0x00000000)
	s_setprio 1
	; sched_barrier mask(0x00000000)
	v_mfma_f32_16x16x32_f16 v[10:13], v[38:41], v[98:101], v[10:13]
	v_mfma_f32_16x16x32_f16 v[10:13], v[78:81], v[90:93], v[10:13]
	s_waitcnt lgkmcnt(1)
	v_mfma_f32_16x16x32_f16 v[38:41], v[82:85], v[42:45], v[46:49]
	s_waitcnt lgkmcnt(0)
	v_mfma_f32_16x16x32_f16 v[38:41], v[114:117], v[50:53], v[38:41]
	v_mfma_f32_16x16x32_f16 v[14:17], v[34:37], v[54:57], v[14:17]
	;; [unrolled: 1-line block ×25, first 2 shown]
	; sched_barrier mask(0x00000000)
	s_waitcnt lgkmcnt(0)
	; wave barrier
	; sched_barrier mask(0x00000000)
	v_mfma_f32_16x16x32_f16 v[0:3], v[134:137], v[110:113], v[0:3]
	v_mfma_f32_16x16x32_f16 v[0:3], v[138:141], v[142:145], v[0:3]
	; sched_barrier mask(0x00000000)
	s_setprio 0
	; sched_barrier mask(0x00000000)
	scratch_load_dword v12, off, off offset:228 ; 4-byte Folded Reload
	v_cvt_f16_f32_e32 v14, v14
	v_cvt_f16_f32_e32 v15, v15
	;; [unrolled: 1-line block ×4, first 2 shown]
	s_add_i32 s2, s5, s2
	v_cvt_f16_f32_e32 v4, v4
	s_lshl_b32 s14, s2, 1
	v_cvt_f16_f32_e32 v5, v5
	v_cvt_f16_f32_e32 v6, v6
	s_mov_b32 s15, 0x20000
	v_cvt_f16_f32_e32 v7, v7
	v_cvt_f16_f32_e32 v0, v0
	v_cvt_f16_f32_e32 v1, v1
	v_cvt_f16_f32_e32 v2, v2
	v_cvt_f16_f32_e32 v3, v3
	s_waitcnt vmcnt(0)
	v_lshrrev_b32_e32 v13, 2, v12
	scratch_load_dword v12, off, off offset:240 ; 4-byte Folded Reload
	v_lshl_or_b32 v21, s11, 5, v13
	s_waitcnt lgkmcnt(0)
	; wave barrier
	scratch_load_dword v22, off, off offset:236 ; 4-byte Folded Reload
	s_waitcnt vmcnt(1)
	v_and_b32_e32 v20, 12, v12
	v_or_b32_e32 v12, s6, v20
	v_mad_u64_u32 v[18:19], s[0:1], v21, s9, v[12:13]
	scratch_load_dword v19, off, off offset:232 ; 4-byte Folded Reload
	v_cmp_gt_i32_e32 vcc, s5, v12
	v_cmp_gt_i32_e64 s[0:1], s4, v21
	s_and_b64 s[2:3], s[0:1], vcc
	v_or_b32_e32 v12, 16, v12
	s_waitcnt vmcnt(0)
	v_lshlrev_b32_e32 v19, 1, v19
	v_lshl_add_u32 v19, v22, 1, v19
	ds_write_b16 v19, v14
	ds_write_b16 v19, v15 offset:32
	ds_write_b16 v19, v16 offset:64
	;; [unrolled: 1-line block ×3, first 2 shown]
	v_lshlrev_b32_e32 v14, 1, v20
	v_lshl_or_b32 v13, v13, 5, v14
	s_waitcnt lgkmcnt(0)
	; wave barrier
	ds_read_b64 v[14:15], v13
	v_bfrev_b32_e32 v16, 1
	v_cndmask_b32_e64 v17, v16, 0, s[2:3]
	v_lshl_add_u32 v17, v18, 1, v17
	s_waitcnt lgkmcnt(0)
	buffer_atomic_pk_add_f16 v14, v17, s[12:15], 0 offen
	buffer_atomic_pk_add_f16 v15, v17, s[12:15], 4 offen
	s_waitcnt lgkmcnt(0)
	; wave barrier
	ds_write_b16 v19, v4
	ds_write_b16 v19, v5 offset:32
	ds_write_b16 v19, v6 offset:64
	;; [unrolled: 1-line block ×3, first 2 shown]
	s_waitcnt lgkmcnt(0)
	; wave barrier
	ds_read_b64 v[4:5], v13
	v_cmp_gt_i32_e64 s[2:3], s5, v12
	s_and_b64 s[0:1], s[0:1], s[2:3]
	v_add_u32_e32 v14, 16, v18
	v_cndmask_b32_e64 v6, v16, 0, s[0:1]
	v_lshl_add_u32 v6, v14, 1, v6
	s_waitcnt lgkmcnt(0)
	buffer_atomic_pk_add_f16 v4, v6, s[12:15], 0 offen
	buffer_atomic_pk_add_f16 v5, v6, s[12:15], 4 offen
	v_or_b32_e32 v4, 16, v21
	s_waitcnt lgkmcnt(0)
	; wave barrier
	ds_write_b16 v19, v0
	ds_write_b16 v19, v1 offset:32
	ds_write_b16 v19, v2 offset:64
	ds_write_b16 v19, v3 offset:96
	s_waitcnt lgkmcnt(0)
	; wave barrier
	ds_read_b64 v[0:1], v13
	v_cmp_gt_i32_e64 s[0:1], s4, v4
	s_lshl_b32 s5, s9, 4
	s_and_b64 s[2:3], s[0:1], s[2:3]
	v_add_u32_e32 v5, s5, v14
	v_cndmask_b32_e64 v2, v16, 0, s[2:3]
	v_lshl_add_u32 v2, v5, 1, v2
	s_waitcnt lgkmcnt(0)
	buffer_atomic_pk_add_f16 v0, v2, s[12:15], 0 offen
	buffer_atomic_pk_add_f16 v1, v2, s[12:15], 4 offen
	v_cvt_f16_f32_e32 v0, v8
	v_cvt_f16_f32_e32 v1, v9
	;; [unrolled: 1-line block ×4, first 2 shown]
	s_waitcnt lgkmcnt(0)
	; wave barrier
	ds_write_b16 v19, v0
	ds_write_b16 v19, v1 offset:32
	ds_write_b16 v19, v2 offset:64
	;; [unrolled: 1-line block ×3, first 2 shown]
	s_waitcnt lgkmcnt(0)
	; wave barrier
	ds_read_b64 v[0:1], v13
	s_and_b64 s[0:1], vcc, s[0:1]
	v_add_u32_e32 v2, s5, v18
	v_cndmask_b32_e64 v3, v16, 0, s[0:1]
	v_lshl_add_u32 v2, v2, 1, v3
	s_waitcnt lgkmcnt(0)
	buffer_atomic_pk_add_f16 v0, v2, s[12:15], 0 offen
	buffer_atomic_pk_add_f16 v1, v2, s[12:15], 4 offen
	s_endpgm
	.section	.rodata,"a",@progbits
	.p2align	6, 0x0
	.amdhsa_kernel _ZN2ck27kernel_gemm_xdl_cshuffle_v3INS_28GridwiseGemm_xdl_cshuffle_v3INS_13tensor_layout4gemm8RowMajorENS3_11ColumnMajorES4_DF16_NS_9f8_fnuz_tEfDF16_DF16_NS_16tensor_operation12element_wise11PassThroughES9_S9_LNS7_6device18GemmSpecializationE0ELi64ELi32ELi32ELi256ELi8ELi16ELi16ELi16ELi2ELi2ENS_8SequenceIJLi32ELi2ELi1EEEENSC_IJLi1ELi0ELi2EEEESE_Li2ELi8ELi8ELb0ELi0ENSC_IJLi16ELi4ELi1EEEESE_SE_Li2ELi16ELi16ELb0ELi0ELi1ELi1ENSC_IJLi1ELi16ELi1ELi4EEEELi4ELNS_26BlockGemmPipelineSchedulerE1ELNS_24BlockGemmPipelineVersionE0EDF16_DF16_Lb0ELb0ELb0ELi0ELb0EEELb1ELNS_25InMemoryDataOperationEnumE1ELi2ELNS_10TailNumberE10EEEvNT_8ArgumentE
		.amdhsa_group_segment_fixed_size 24576
		.amdhsa_private_segment_fixed_size 248
		.amdhsa_kernarg_size 112
		.amdhsa_user_sgpr_count 2
		.amdhsa_user_sgpr_dispatch_ptr 0
		.amdhsa_user_sgpr_queue_ptr 0
		.amdhsa_user_sgpr_kernarg_segment_ptr 1
		.amdhsa_user_sgpr_dispatch_id 0
		.amdhsa_user_sgpr_kernarg_preload_length 0
		.amdhsa_user_sgpr_kernarg_preload_offset 0
		.amdhsa_user_sgpr_private_segment_size 0
		.amdhsa_uses_dynamic_stack 0
		.amdhsa_enable_private_segment 1
		.amdhsa_system_sgpr_workgroup_id_x 1
		.amdhsa_system_sgpr_workgroup_id_y 0
		.amdhsa_system_sgpr_workgroup_id_z 1
		.amdhsa_system_sgpr_workgroup_info 0
		.amdhsa_system_vgpr_workitem_id 0
		.amdhsa_next_free_vgpr 256
		.amdhsa_next_free_sgpr 96
		.amdhsa_accum_offset 256
		.amdhsa_reserve_vcc 1
		.amdhsa_float_round_mode_32 0
		.amdhsa_float_round_mode_16_64 0
		.amdhsa_float_denorm_mode_32 3
		.amdhsa_float_denorm_mode_16_64 3
		.amdhsa_dx10_clamp 1
		.amdhsa_ieee_mode 1
		.amdhsa_fp16_overflow 0
		.amdhsa_tg_split 0
		.amdhsa_exception_fp_ieee_invalid_op 0
		.amdhsa_exception_fp_denorm_src 0
		.amdhsa_exception_fp_ieee_div_zero 0
		.amdhsa_exception_fp_ieee_overflow 0
		.amdhsa_exception_fp_ieee_underflow 0
		.amdhsa_exception_fp_ieee_inexact 0
		.amdhsa_exception_int_div_zero 0
	.end_amdhsa_kernel
	.section	.text._ZN2ck27kernel_gemm_xdl_cshuffle_v3INS_28GridwiseGemm_xdl_cshuffle_v3INS_13tensor_layout4gemm8RowMajorENS3_11ColumnMajorES4_DF16_NS_9f8_fnuz_tEfDF16_DF16_NS_16tensor_operation12element_wise11PassThroughES9_S9_LNS7_6device18GemmSpecializationE0ELi64ELi32ELi32ELi256ELi8ELi16ELi16ELi16ELi2ELi2ENS_8SequenceIJLi32ELi2ELi1EEEENSC_IJLi1ELi0ELi2EEEESE_Li2ELi8ELi8ELb0ELi0ENSC_IJLi16ELi4ELi1EEEESE_SE_Li2ELi16ELi16ELb0ELi0ELi1ELi1ENSC_IJLi1ELi16ELi1ELi4EEEELi4ELNS_26BlockGemmPipelineSchedulerE1ELNS_24BlockGemmPipelineVersionE0EDF16_DF16_Lb0ELb0ELb0ELi0ELb0EEELb1ELNS_25InMemoryDataOperationEnumE1ELi2ELNS_10TailNumberE10EEEvNT_8ArgumentE,"axG",@progbits,_ZN2ck27kernel_gemm_xdl_cshuffle_v3INS_28GridwiseGemm_xdl_cshuffle_v3INS_13tensor_layout4gemm8RowMajorENS3_11ColumnMajorES4_DF16_NS_9f8_fnuz_tEfDF16_DF16_NS_16tensor_operation12element_wise11PassThroughES9_S9_LNS7_6device18GemmSpecializationE0ELi64ELi32ELi32ELi256ELi8ELi16ELi16ELi16ELi2ELi2ENS_8SequenceIJLi32ELi2ELi1EEEENSC_IJLi1ELi0ELi2EEEESE_Li2ELi8ELi8ELb0ELi0ENSC_IJLi16ELi4ELi1EEEESE_SE_Li2ELi16ELi16ELb0ELi0ELi1ELi1ENSC_IJLi1ELi16ELi1ELi4EEEELi4ELNS_26BlockGemmPipelineSchedulerE1ELNS_24BlockGemmPipelineVersionE0EDF16_DF16_Lb0ELb0ELb0ELi0ELb0EEELb1ELNS_25InMemoryDataOperationEnumE1ELi2ELNS_10TailNumberE10EEEvNT_8ArgumentE,comdat
.Lfunc_end1:
	.size	_ZN2ck27kernel_gemm_xdl_cshuffle_v3INS_28GridwiseGemm_xdl_cshuffle_v3INS_13tensor_layout4gemm8RowMajorENS3_11ColumnMajorES4_DF16_NS_9f8_fnuz_tEfDF16_DF16_NS_16tensor_operation12element_wise11PassThroughES9_S9_LNS7_6device18GemmSpecializationE0ELi64ELi32ELi32ELi256ELi8ELi16ELi16ELi16ELi2ELi2ENS_8SequenceIJLi32ELi2ELi1EEEENSC_IJLi1ELi0ELi2EEEESE_Li2ELi8ELi8ELb0ELi0ENSC_IJLi16ELi4ELi1EEEESE_SE_Li2ELi16ELi16ELb0ELi0ELi1ELi1ENSC_IJLi1ELi16ELi1ELi4EEEELi4ELNS_26BlockGemmPipelineSchedulerE1ELNS_24BlockGemmPipelineVersionE0EDF16_DF16_Lb0ELb0ELb0ELi0ELb0EEELb1ELNS_25InMemoryDataOperationEnumE1ELi2ELNS_10TailNumberE10EEEvNT_8ArgumentE, .Lfunc_end1-_ZN2ck27kernel_gemm_xdl_cshuffle_v3INS_28GridwiseGemm_xdl_cshuffle_v3INS_13tensor_layout4gemm8RowMajorENS3_11ColumnMajorES4_DF16_NS_9f8_fnuz_tEfDF16_DF16_NS_16tensor_operation12element_wise11PassThroughES9_S9_LNS7_6device18GemmSpecializationE0ELi64ELi32ELi32ELi256ELi8ELi16ELi16ELi16ELi2ELi2ENS_8SequenceIJLi32ELi2ELi1EEEENSC_IJLi1ELi0ELi2EEEESE_Li2ELi8ELi8ELb0ELi0ENSC_IJLi16ELi4ELi1EEEESE_SE_Li2ELi16ELi16ELb0ELi0ELi1ELi1ENSC_IJLi1ELi16ELi1ELi4EEEELi4ELNS_26BlockGemmPipelineSchedulerE1ELNS_24BlockGemmPipelineVersionE0EDF16_DF16_Lb0ELb0ELb0ELi0ELb0EEELb1ELNS_25InMemoryDataOperationEnumE1ELi2ELNS_10TailNumberE10EEEvNT_8ArgumentE
                                        ; -- End function
	.set _ZN2ck27kernel_gemm_xdl_cshuffle_v3INS_28GridwiseGemm_xdl_cshuffle_v3INS_13tensor_layout4gemm8RowMajorENS3_11ColumnMajorES4_DF16_NS_9f8_fnuz_tEfDF16_DF16_NS_16tensor_operation12element_wise11PassThroughES9_S9_LNS7_6device18GemmSpecializationE0ELi64ELi32ELi32ELi256ELi8ELi16ELi16ELi16ELi2ELi2ENS_8SequenceIJLi32ELi2ELi1EEEENSC_IJLi1ELi0ELi2EEEESE_Li2ELi8ELi8ELb0ELi0ENSC_IJLi16ELi4ELi1EEEESE_SE_Li2ELi16ELi16ELb0ELi0ELi1ELi1ENSC_IJLi1ELi16ELi1ELi4EEEELi4ELNS_26BlockGemmPipelineSchedulerE1ELNS_24BlockGemmPipelineVersionE0EDF16_DF16_Lb0ELb0ELb0ELi0ELb0EEELb1ELNS_25InMemoryDataOperationEnumE1ELi2ELNS_10TailNumberE10EEEvNT_8ArgumentE.num_vgpr, 256
	.set _ZN2ck27kernel_gemm_xdl_cshuffle_v3INS_28GridwiseGemm_xdl_cshuffle_v3INS_13tensor_layout4gemm8RowMajorENS3_11ColumnMajorES4_DF16_NS_9f8_fnuz_tEfDF16_DF16_NS_16tensor_operation12element_wise11PassThroughES9_S9_LNS7_6device18GemmSpecializationE0ELi64ELi32ELi32ELi256ELi8ELi16ELi16ELi16ELi2ELi2ENS_8SequenceIJLi32ELi2ELi1EEEENSC_IJLi1ELi0ELi2EEEESE_Li2ELi8ELi8ELb0ELi0ENSC_IJLi16ELi4ELi1EEEESE_SE_Li2ELi16ELi16ELb0ELi0ELi1ELi1ENSC_IJLi1ELi16ELi1ELi4EEEELi4ELNS_26BlockGemmPipelineSchedulerE1ELNS_24BlockGemmPipelineVersionE0EDF16_DF16_Lb0ELb0ELb0ELi0ELb0EEELb1ELNS_25InMemoryDataOperationEnumE1ELi2ELNS_10TailNumberE10EEEvNT_8ArgumentE.num_agpr, 0
	.set _ZN2ck27kernel_gemm_xdl_cshuffle_v3INS_28GridwiseGemm_xdl_cshuffle_v3INS_13tensor_layout4gemm8RowMajorENS3_11ColumnMajorES4_DF16_NS_9f8_fnuz_tEfDF16_DF16_NS_16tensor_operation12element_wise11PassThroughES9_S9_LNS7_6device18GemmSpecializationE0ELi64ELi32ELi32ELi256ELi8ELi16ELi16ELi16ELi2ELi2ENS_8SequenceIJLi32ELi2ELi1EEEENSC_IJLi1ELi0ELi2EEEESE_Li2ELi8ELi8ELb0ELi0ENSC_IJLi16ELi4ELi1EEEESE_SE_Li2ELi16ELi16ELb0ELi0ELi1ELi1ENSC_IJLi1ELi16ELi1ELi4EEEELi4ELNS_26BlockGemmPipelineSchedulerE1ELNS_24BlockGemmPipelineVersionE0EDF16_DF16_Lb0ELb0ELb0ELi0ELb0EEELb1ELNS_25InMemoryDataOperationEnumE1ELi2ELNS_10TailNumberE10EEEvNT_8ArgumentE.numbered_sgpr, 29
	.set _ZN2ck27kernel_gemm_xdl_cshuffle_v3INS_28GridwiseGemm_xdl_cshuffle_v3INS_13tensor_layout4gemm8RowMajorENS3_11ColumnMajorES4_DF16_NS_9f8_fnuz_tEfDF16_DF16_NS_16tensor_operation12element_wise11PassThroughES9_S9_LNS7_6device18GemmSpecializationE0ELi64ELi32ELi32ELi256ELi8ELi16ELi16ELi16ELi2ELi2ENS_8SequenceIJLi32ELi2ELi1EEEENSC_IJLi1ELi0ELi2EEEESE_Li2ELi8ELi8ELb0ELi0ENSC_IJLi16ELi4ELi1EEEESE_SE_Li2ELi16ELi16ELb0ELi0ELi1ELi1ENSC_IJLi1ELi16ELi1ELi4EEEELi4ELNS_26BlockGemmPipelineSchedulerE1ELNS_24BlockGemmPipelineVersionE0EDF16_DF16_Lb0ELb0ELb0ELi0ELb0EEELb1ELNS_25InMemoryDataOperationEnumE1ELi2ELNS_10TailNumberE10EEEvNT_8ArgumentE.num_named_barrier, 0
	.set _ZN2ck27kernel_gemm_xdl_cshuffle_v3INS_28GridwiseGemm_xdl_cshuffle_v3INS_13tensor_layout4gemm8RowMajorENS3_11ColumnMajorES4_DF16_NS_9f8_fnuz_tEfDF16_DF16_NS_16tensor_operation12element_wise11PassThroughES9_S9_LNS7_6device18GemmSpecializationE0ELi64ELi32ELi32ELi256ELi8ELi16ELi16ELi16ELi2ELi2ENS_8SequenceIJLi32ELi2ELi1EEEENSC_IJLi1ELi0ELi2EEEESE_Li2ELi8ELi8ELb0ELi0ENSC_IJLi16ELi4ELi1EEEESE_SE_Li2ELi16ELi16ELb0ELi0ELi1ELi1ENSC_IJLi1ELi16ELi1ELi4EEEELi4ELNS_26BlockGemmPipelineSchedulerE1ELNS_24BlockGemmPipelineVersionE0EDF16_DF16_Lb0ELb0ELb0ELi0ELb0EEELb1ELNS_25InMemoryDataOperationEnumE1ELi2ELNS_10TailNumberE10EEEvNT_8ArgumentE.private_seg_size, 248
	.set _ZN2ck27kernel_gemm_xdl_cshuffle_v3INS_28GridwiseGemm_xdl_cshuffle_v3INS_13tensor_layout4gemm8RowMajorENS3_11ColumnMajorES4_DF16_NS_9f8_fnuz_tEfDF16_DF16_NS_16tensor_operation12element_wise11PassThroughES9_S9_LNS7_6device18GemmSpecializationE0ELi64ELi32ELi32ELi256ELi8ELi16ELi16ELi16ELi2ELi2ENS_8SequenceIJLi32ELi2ELi1EEEENSC_IJLi1ELi0ELi2EEEESE_Li2ELi8ELi8ELb0ELi0ENSC_IJLi16ELi4ELi1EEEESE_SE_Li2ELi16ELi16ELb0ELi0ELi1ELi1ENSC_IJLi1ELi16ELi1ELi4EEEELi4ELNS_26BlockGemmPipelineSchedulerE1ELNS_24BlockGemmPipelineVersionE0EDF16_DF16_Lb0ELb0ELb0ELi0ELb0EEELb1ELNS_25InMemoryDataOperationEnumE1ELi2ELNS_10TailNumberE10EEEvNT_8ArgumentE.uses_vcc, 1
	.set _ZN2ck27kernel_gemm_xdl_cshuffle_v3INS_28GridwiseGemm_xdl_cshuffle_v3INS_13tensor_layout4gemm8RowMajorENS3_11ColumnMajorES4_DF16_NS_9f8_fnuz_tEfDF16_DF16_NS_16tensor_operation12element_wise11PassThroughES9_S9_LNS7_6device18GemmSpecializationE0ELi64ELi32ELi32ELi256ELi8ELi16ELi16ELi16ELi2ELi2ENS_8SequenceIJLi32ELi2ELi1EEEENSC_IJLi1ELi0ELi2EEEESE_Li2ELi8ELi8ELb0ELi0ENSC_IJLi16ELi4ELi1EEEESE_SE_Li2ELi16ELi16ELb0ELi0ELi1ELi1ENSC_IJLi1ELi16ELi1ELi4EEEELi4ELNS_26BlockGemmPipelineSchedulerE1ELNS_24BlockGemmPipelineVersionE0EDF16_DF16_Lb0ELb0ELb0ELi0ELb0EEELb1ELNS_25InMemoryDataOperationEnumE1ELi2ELNS_10TailNumberE10EEEvNT_8ArgumentE.uses_flat_scratch, 0
	.set _ZN2ck27kernel_gemm_xdl_cshuffle_v3INS_28GridwiseGemm_xdl_cshuffle_v3INS_13tensor_layout4gemm8RowMajorENS3_11ColumnMajorES4_DF16_NS_9f8_fnuz_tEfDF16_DF16_NS_16tensor_operation12element_wise11PassThroughES9_S9_LNS7_6device18GemmSpecializationE0ELi64ELi32ELi32ELi256ELi8ELi16ELi16ELi16ELi2ELi2ENS_8SequenceIJLi32ELi2ELi1EEEENSC_IJLi1ELi0ELi2EEEESE_Li2ELi8ELi8ELb0ELi0ENSC_IJLi16ELi4ELi1EEEESE_SE_Li2ELi16ELi16ELb0ELi0ELi1ELi1ENSC_IJLi1ELi16ELi1ELi4EEEELi4ELNS_26BlockGemmPipelineSchedulerE1ELNS_24BlockGemmPipelineVersionE0EDF16_DF16_Lb0ELb0ELb0ELi0ELb0EEELb1ELNS_25InMemoryDataOperationEnumE1ELi2ELNS_10TailNumberE10EEEvNT_8ArgumentE.has_dyn_sized_stack, 0
	.set _ZN2ck27kernel_gemm_xdl_cshuffle_v3INS_28GridwiseGemm_xdl_cshuffle_v3INS_13tensor_layout4gemm8RowMajorENS3_11ColumnMajorES4_DF16_NS_9f8_fnuz_tEfDF16_DF16_NS_16tensor_operation12element_wise11PassThroughES9_S9_LNS7_6device18GemmSpecializationE0ELi64ELi32ELi32ELi256ELi8ELi16ELi16ELi16ELi2ELi2ENS_8SequenceIJLi32ELi2ELi1EEEENSC_IJLi1ELi0ELi2EEEESE_Li2ELi8ELi8ELb0ELi0ENSC_IJLi16ELi4ELi1EEEESE_SE_Li2ELi16ELi16ELb0ELi0ELi1ELi1ENSC_IJLi1ELi16ELi1ELi4EEEELi4ELNS_26BlockGemmPipelineSchedulerE1ELNS_24BlockGemmPipelineVersionE0EDF16_DF16_Lb0ELb0ELb0ELi0ELb0EEELb1ELNS_25InMemoryDataOperationEnumE1ELi2ELNS_10TailNumberE10EEEvNT_8ArgumentE.has_recursion, 0
	.set _ZN2ck27kernel_gemm_xdl_cshuffle_v3INS_28GridwiseGemm_xdl_cshuffle_v3INS_13tensor_layout4gemm8RowMajorENS3_11ColumnMajorES4_DF16_NS_9f8_fnuz_tEfDF16_DF16_NS_16tensor_operation12element_wise11PassThroughES9_S9_LNS7_6device18GemmSpecializationE0ELi64ELi32ELi32ELi256ELi8ELi16ELi16ELi16ELi2ELi2ENS_8SequenceIJLi32ELi2ELi1EEEENSC_IJLi1ELi0ELi2EEEESE_Li2ELi8ELi8ELb0ELi0ENSC_IJLi16ELi4ELi1EEEESE_SE_Li2ELi16ELi16ELb0ELi0ELi1ELi1ENSC_IJLi1ELi16ELi1ELi4EEEELi4ELNS_26BlockGemmPipelineSchedulerE1ELNS_24BlockGemmPipelineVersionE0EDF16_DF16_Lb0ELb0ELb0ELi0ELb0EEELb1ELNS_25InMemoryDataOperationEnumE1ELi2ELNS_10TailNumberE10EEEvNT_8ArgumentE.has_indirect_call, 0
	.section	.AMDGPU.csdata,"",@progbits
; Kernel info:
; codeLenInByte = 8944
; TotalNumSgprs: 35
; NumVgprs: 256
; NumAgprs: 0
; TotalNumVgprs: 256
; ScratchSize: 248
; MemoryBound: 0
; FloatMode: 240
; IeeeMode: 1
; LDSByteSize: 24576 bytes/workgroup (compile time only)
; SGPRBlocks: 12
; VGPRBlocks: 31
; NumSGPRsForWavesPerEU: 102
; NumVGPRsForWavesPerEU: 256
; AccumOffset: 256
; Occupancy: 2
; WaveLimiterHint : 0
; COMPUTE_PGM_RSRC2:SCRATCH_EN: 1
; COMPUTE_PGM_RSRC2:USER_SGPR: 2
; COMPUTE_PGM_RSRC2:TRAP_HANDLER: 0
; COMPUTE_PGM_RSRC2:TGID_X_EN: 1
; COMPUTE_PGM_RSRC2:TGID_Y_EN: 0
; COMPUTE_PGM_RSRC2:TGID_Z_EN: 1
; COMPUTE_PGM_RSRC2:TIDIG_COMP_CNT: 0
; COMPUTE_PGM_RSRC3_GFX90A:ACCUM_OFFSET: 63
; COMPUTE_PGM_RSRC3_GFX90A:TG_SPLIT: 0
	.section	.text._ZN2ck27kernel_gemm_xdl_cshuffle_v3INS_28GridwiseGemm_xdl_cshuffle_v3INS_13tensor_layout4gemm8RowMajorENS3_11ColumnMajorES4_DF16_NS_9f8_fnuz_tEfDF16_DF16_NS_16tensor_operation12element_wise11PassThroughES9_S9_LNS7_6device18GemmSpecializationE0ELi64ELi32ELi32ELi256ELi8ELi16ELi16ELi16ELi2ELi2ENS_8SequenceIJLi32ELi2ELi1EEEENSC_IJLi1ELi0ELi2EEEESE_Li2ELi8ELi8ELb0ELi0ENSC_IJLi16ELi4ELi1EEEESE_SE_Li2ELi16ELi16ELb0ELi0ELi1ELi1ENSC_IJLi1ELi16ELi1ELi4EEEELi4ELNS_26BlockGemmPipelineSchedulerE1ELNS_24BlockGemmPipelineVersionE0EDF16_DF16_Lb0ELb0ELb0ELi0ELb0EEELb1ELNS_25InMemoryDataOperationEnumE0ELi2ELNS_10TailNumberE10EEEvNT_8ArgumentE,"axG",@progbits,_ZN2ck27kernel_gemm_xdl_cshuffle_v3INS_28GridwiseGemm_xdl_cshuffle_v3INS_13tensor_layout4gemm8RowMajorENS3_11ColumnMajorES4_DF16_NS_9f8_fnuz_tEfDF16_DF16_NS_16tensor_operation12element_wise11PassThroughES9_S9_LNS7_6device18GemmSpecializationE0ELi64ELi32ELi32ELi256ELi8ELi16ELi16ELi16ELi2ELi2ENS_8SequenceIJLi32ELi2ELi1EEEENSC_IJLi1ELi0ELi2EEEESE_Li2ELi8ELi8ELb0ELi0ENSC_IJLi16ELi4ELi1EEEESE_SE_Li2ELi16ELi16ELb0ELi0ELi1ELi1ENSC_IJLi1ELi16ELi1ELi4EEEELi4ELNS_26BlockGemmPipelineSchedulerE1ELNS_24BlockGemmPipelineVersionE0EDF16_DF16_Lb0ELb0ELb0ELi0ELb0EEELb1ELNS_25InMemoryDataOperationEnumE0ELi2ELNS_10TailNumberE10EEEvNT_8ArgumentE,comdat
	.protected	_ZN2ck27kernel_gemm_xdl_cshuffle_v3INS_28GridwiseGemm_xdl_cshuffle_v3INS_13tensor_layout4gemm8RowMajorENS3_11ColumnMajorES4_DF16_NS_9f8_fnuz_tEfDF16_DF16_NS_16tensor_operation12element_wise11PassThroughES9_S9_LNS7_6device18GemmSpecializationE0ELi64ELi32ELi32ELi256ELi8ELi16ELi16ELi16ELi2ELi2ENS_8SequenceIJLi32ELi2ELi1EEEENSC_IJLi1ELi0ELi2EEEESE_Li2ELi8ELi8ELb0ELi0ENSC_IJLi16ELi4ELi1EEEESE_SE_Li2ELi16ELi16ELb0ELi0ELi1ELi1ENSC_IJLi1ELi16ELi1ELi4EEEELi4ELNS_26BlockGemmPipelineSchedulerE1ELNS_24BlockGemmPipelineVersionE0EDF16_DF16_Lb0ELb0ELb0ELi0ELb0EEELb1ELNS_25InMemoryDataOperationEnumE0ELi2ELNS_10TailNumberE10EEEvNT_8ArgumentE ; -- Begin function _ZN2ck27kernel_gemm_xdl_cshuffle_v3INS_28GridwiseGemm_xdl_cshuffle_v3INS_13tensor_layout4gemm8RowMajorENS3_11ColumnMajorES4_DF16_NS_9f8_fnuz_tEfDF16_DF16_NS_16tensor_operation12element_wise11PassThroughES9_S9_LNS7_6device18GemmSpecializationE0ELi64ELi32ELi32ELi256ELi8ELi16ELi16ELi16ELi2ELi2ENS_8SequenceIJLi32ELi2ELi1EEEENSC_IJLi1ELi0ELi2EEEESE_Li2ELi8ELi8ELb0ELi0ENSC_IJLi16ELi4ELi1EEEESE_SE_Li2ELi16ELi16ELb0ELi0ELi1ELi1ENSC_IJLi1ELi16ELi1ELi4EEEELi4ELNS_26BlockGemmPipelineSchedulerE1ELNS_24BlockGemmPipelineVersionE0EDF16_DF16_Lb0ELb0ELb0ELi0ELb0EEELb1ELNS_25InMemoryDataOperationEnumE0ELi2ELNS_10TailNumberE10EEEvNT_8ArgumentE
	.globl	_ZN2ck27kernel_gemm_xdl_cshuffle_v3INS_28GridwiseGemm_xdl_cshuffle_v3INS_13tensor_layout4gemm8RowMajorENS3_11ColumnMajorES4_DF16_NS_9f8_fnuz_tEfDF16_DF16_NS_16tensor_operation12element_wise11PassThroughES9_S9_LNS7_6device18GemmSpecializationE0ELi64ELi32ELi32ELi256ELi8ELi16ELi16ELi16ELi2ELi2ENS_8SequenceIJLi32ELi2ELi1EEEENSC_IJLi1ELi0ELi2EEEESE_Li2ELi8ELi8ELb0ELi0ENSC_IJLi16ELi4ELi1EEEESE_SE_Li2ELi16ELi16ELb0ELi0ELi1ELi1ENSC_IJLi1ELi16ELi1ELi4EEEELi4ELNS_26BlockGemmPipelineSchedulerE1ELNS_24BlockGemmPipelineVersionE0EDF16_DF16_Lb0ELb0ELb0ELi0ELb0EEELb1ELNS_25InMemoryDataOperationEnumE0ELi2ELNS_10TailNumberE10EEEvNT_8ArgumentE
	.p2align	8
	.type	_ZN2ck27kernel_gemm_xdl_cshuffle_v3INS_28GridwiseGemm_xdl_cshuffle_v3INS_13tensor_layout4gemm8RowMajorENS3_11ColumnMajorES4_DF16_NS_9f8_fnuz_tEfDF16_DF16_NS_16tensor_operation12element_wise11PassThroughES9_S9_LNS7_6device18GemmSpecializationE0ELi64ELi32ELi32ELi256ELi8ELi16ELi16ELi16ELi2ELi2ENS_8SequenceIJLi32ELi2ELi1EEEENSC_IJLi1ELi0ELi2EEEESE_Li2ELi8ELi8ELb0ELi0ENSC_IJLi16ELi4ELi1EEEESE_SE_Li2ELi16ELi16ELb0ELi0ELi1ELi1ENSC_IJLi1ELi16ELi1ELi4EEEELi4ELNS_26BlockGemmPipelineSchedulerE1ELNS_24BlockGemmPipelineVersionE0EDF16_DF16_Lb0ELb0ELb0ELi0ELb0EEELb1ELNS_25InMemoryDataOperationEnumE0ELi2ELNS_10TailNumberE10EEEvNT_8ArgumentE,@function
_ZN2ck27kernel_gemm_xdl_cshuffle_v3INS_28GridwiseGemm_xdl_cshuffle_v3INS_13tensor_layout4gemm8RowMajorENS3_11ColumnMajorES4_DF16_NS_9f8_fnuz_tEfDF16_DF16_NS_16tensor_operation12element_wise11PassThroughES9_S9_LNS7_6device18GemmSpecializationE0ELi64ELi32ELi32ELi256ELi8ELi16ELi16ELi16ELi2ELi2ENS_8SequenceIJLi32ELi2ELi1EEEENSC_IJLi1ELi0ELi2EEEESE_Li2ELi8ELi8ELb0ELi0ENSC_IJLi16ELi4ELi1EEEESE_SE_Li2ELi16ELi16ELb0ELi0ELi1ELi1ENSC_IJLi1ELi16ELi1ELi4EEEELi4ELNS_26BlockGemmPipelineSchedulerE1ELNS_24BlockGemmPipelineVersionE0EDF16_DF16_Lb0ELb0ELb0ELi0ELb0EEELb1ELNS_25InMemoryDataOperationEnumE0ELi2ELNS_10TailNumberE10EEEvNT_8ArgumentE: ; @_ZN2ck27kernel_gemm_xdl_cshuffle_v3INS_28GridwiseGemm_xdl_cshuffle_v3INS_13tensor_layout4gemm8RowMajorENS3_11ColumnMajorES4_DF16_NS_9f8_fnuz_tEfDF16_DF16_NS_16tensor_operation12element_wise11PassThroughES9_S9_LNS7_6device18GemmSpecializationE0ELi64ELi32ELi32ELi256ELi8ELi16ELi16ELi16ELi2ELi2ENS_8SequenceIJLi32ELi2ELi1EEEENSC_IJLi1ELi0ELi2EEEESE_Li2ELi8ELi8ELb0ELi0ENSC_IJLi16ELi4ELi1EEEESE_SE_Li2ELi16ELi16ELb0ELi0ELi1ELi1ENSC_IJLi1ELi16ELi1ELi4EEEELi4ELNS_26BlockGemmPipelineSchedulerE1ELNS_24BlockGemmPipelineVersionE0EDF16_DF16_Lb0ELb0ELb0ELi0ELb0EEELb1ELNS_25InMemoryDataOperationEnumE0ELi2ELNS_10TailNumberE10EEEvNT_8ArgumentE
; %bb.0:
	s_load_dwordx8 s[4:11], s[0:1], 0x10
	s_load_dwordx2 s[16:17], s[0:1], 0x60
	s_waitcnt lgkmcnt(0)
	s_load_dword s11, s[0:1], 0x68
	s_load_dword s21, s[0:1], 0x3c
	s_load_dwordx4 s[12:15], s[0:1], 0x50
	s_cmp_gt_i32 s10, 1
	s_cselect_b64 s[18:19], -1, 0
	s_waitcnt lgkmcnt(0)
	s_bitcmp1_b32 s11, 0
	s_cselect_b64 s[22:23], -1, 0
	s_and_b64 s[18:19], s[18:19], s[22:23]
	s_andn2_b64 vcc, exec, s[18:19]
	s_mov_b64 s[18:19], 0
	s_cbranch_vccnz .LBB2_2
; %bb.1:
	s_mul_i32 s11, s4, s3
	s_mul_i32 s18, s11, s5
	s_ashr_i32 s19, s18, 31
.LBB2_2:
	s_load_dword s22, s[0:1], 0x34
	s_add_i32 s20, s4, -1
	s_cmp_lt_u32 s20, 32
	s_mov_b32 s11, 0
	s_cbranch_scc1 .LBB2_10
; %bb.3:
	s_add_i32 s0, s5, -1
	s_cmp_lt_u32 s0, 32
	s_mov_b32 s0, 0
	s_cbranch_scc1 .LBB2_9
; %bb.4:
	s_add_i32 s0, s4, 31
	s_ashr_i32 s1, s0, 31
	s_lshr_b32 s1, s1, 27
	s_add_i32 s0, s0, s1
	s_ashr_i32 s23, s0, 5
	s_add_i32 s0, s5, 31
	s_ashr_i32 s1, s0, 31
	s_lshr_b32 s1, s1, 27
	s_add_i32 s0, s0, s1
	s_ashr_i32 s11, s0, 5
	s_mul_i32 s0, s11, s23
	s_add_i32 s1, s0, 7
	s_ashr_i32 s24, s1, 31
	s_lshr_b32 s24, s24, 29
	s_add_i32 s1, s1, s24
	s_ashr_i32 s24, s1, 3
	s_and_b32 s1, s1, -8
	s_sub_i32 s25, s0, s1
	s_ashr_i32 s0, s2, 31
	s_lshr_b32 s0, s0, 29
	s_add_i32 s27, s2, s0
	s_and_b32 s0, s27, -8
	s_add_i32 s25, s25, 8
	s_sub_i32 s26, s2, s0
	s_cmp_gt_i32 s26, s25
	s_cbranch_scc1 .LBB2_6
; %bb.5:
	s_mul_i32 s2, s24, s26
	s_ashr_i32 s0, s27, 3
	s_cbranch_execz .LBB2_7
	s_branch .LBB2_8
.LBB2_6:
                                        ; implicit-def: $sgpr2
	s_ashr_i32 s0, s27, 3
.LBB2_7:
	s_add_i32 s1, s24, -1
	s_mul_i32 s1, s1, s26
	s_add_i32 s2, s25, s1
.LBB2_8:
	s_abs_i32 s1, s11
	v_cvt_f32_u32_e32 v1, s1
	s_sub_i32 s25, 0, s1
	s_add_i32 s0, s2, s0
	s_abs_i32 s24, s0
	v_rcp_iflag_f32_e32 v1, v1
	s_xor_b32 s2, s0, s11
	s_ashr_i32 s2, s2, 31
	v_mul_f32_e32 v1, 0x4f7ffffe, v1
	v_cvt_u32_f32_e32 v1, v1
	s_nop 0
	v_readfirstlane_b32 s26, v1
	s_mul_i32 s25, s25, s26
	s_mul_hi_u32 s25, s26, s25
	s_add_i32 s26, s26, s25
	s_mul_hi_u32 s25, s24, s26
	s_mul_i32 s26, s25, s1
	s_sub_i32 s24, s24, s26
	s_add_i32 s27, s25, 1
	s_sub_i32 s26, s24, s1
	s_cmp_ge_u32 s24, s1
	s_cselect_b32 s25, s27, s25
	s_cselect_b32 s24, s26, s24
	s_add_i32 s26, s25, 1
	s_cmp_ge_u32 s24, s1
	s_cselect_b32 s1, s26, s25
	s_xor_b32 s1, s1, s2
	s_lshr_b32 s24, s23, 30
	s_sub_i32 s1, s1, s2
	s_add_i32 s24, s23, s24
	s_mul_i32 s2, s1, s11
	s_sub_i32 s0, s0, s2
	s_and_b32 s2, s24, -4
	s_sub_i32 s23, s23, s2
	s_cmp_ge_i32 s1, s2
	s_cselect_b32 s2, s23, 4
	s_abs_i32 s24, s2
	v_cvt_f32_u32_e32 v1, s24
	s_ashr_i32 s23, s1, 31
	s_lshr_b32 s23, s23, 30
	s_add_i32 s23, s1, s23
	v_rcp_iflag_f32_e32 v1, v1
	s_and_b32 s23, s23, -4
	s_sub_i32 s23, s1, s23
	s_sub_i32 s26, 0, s24
	v_mul_f32_e32 v1, 0x4f7ffffe, v1
	v_cvt_u32_f32_e32 v1, v1
	s_mul_i32 s11, s23, s11
	s_add_i32 s11, s11, s0
	s_abs_i32 s25, s11
	v_readfirstlane_b32 s27, v1
	s_mul_i32 s26, s26, s27
	s_mul_hi_u32 s26, s27, s26
	s_add_i32 s27, s27, s26
	s_mul_hi_u32 s26, s25, s27
	s_mul_i32 s27, s26, s24
	s_xor_b32 s0, s11, s2
	s_sub_i32 s25, s25, s27
	s_ashr_i32 s0, s0, 31
	s_add_i32 s27, s26, 1
	s_sub_i32 s28, s25, s24
	s_cmp_ge_u32 s25, s24
	s_cselect_b32 s26, s27, s26
	s_cselect_b32 s25, s28, s25
	s_add_i32 s27, s26, 1
	s_cmp_ge_u32 s25, s24
	s_cselect_b32 s24, s27, s26
	s_xor_b32 s24, s24, s0
	s_sub_i32 s0, s24, s0
	s_mul_i32 s2, s0, s2
	s_sub_i32 s2, s11, s2
	s_add_i32 s2, s2, s1
	s_sub_i32 s2, s2, s23
.LBB2_9:
	s_mov_b32 s11, s2
	s_mov_b32 s2, s0
.LBB2_10:
	s_add_i32 s0, s10, -1
	s_waitcnt lgkmcnt(0)
	s_mul_i32 s1, s0, s22
	s_sub_i32 s1, s6, s1
	s_mul_i32 s24, s22, s3
	s_cmp_lt_u32 s3, s0
	s_cselect_b32 s10, s22, s1
	s_ashr_i32 s25, s24, 31
	s_lshl_b64 s[0:1], s[24:25], 1
	s_add_u32 s0, s12, s0
	v_lshrrev_b32_e32 v1, 1, v0
	s_addc_u32 s1, s13, s1
	v_and_b32_e32 v98, 16, v1
	s_add_u32 s12, s14, s24
	v_and_b32_e32 v113, 31, v0
	v_lshl_or_b32 v99, s11, 5, v98
	s_addc_u32 s13, s15, s25
	s_mul_i32 s3, s20, s7
	s_add_i32 s6, s5, -1
	v_mul_lo_u32 v100, v99, s7
	v_bitop3_b32 v101, v1, v113, 16 bitop3:0x6c
	v_lshlrev_b32_e32 v2, 8, v98
	s_mul_i32 s14, s6, s8
	s_lshl_b32 s6, s2, 5
	v_lshl_add_u32 v6, v113, 3, v100
	v_lshl_or_b32 v102, v101, 3, v2
	v_and_b32_e32 v2, 24, v1
	s_add_i32 s2, s10, s3
	v_or_b32_e32 v103, s6, v2
	v_lshlrev_b32_e32 v7, 8, v2
	s_lshl_b32 s2, s2, 1
	s_and_b32 s1, s1, 0xffff
	s_mov_b32 s3, 0x20000
	v_lshlrev_b32_e32 v2, 1, v6
	buffer_load_dwordx4 v[2:5], v2, s[0:3], 0 offen
	v_and_b32_e32 v114, 15, v0
	v_add_u32_e32 v10, s7, v6
	v_bitop3_b32 v106, v1, v114, 8 bitop3:0x6c
	v_lshlrev_b32_e32 v6, 1, v10
	v_lshl_or_b32 v107, v106, 4, v7
	buffer_load_dwordx4 v[6:9], v6, s[0:3], 0 offen
	v_lshlrev_b32_e32 v11, 2, v0
	v_add_u32_e32 v15, s7, v10
	v_and_b32_e32 v115, 0xc0, v11
	v_lshlrev_b32_e32 v10, 1, v15
	scratch_store_dword off, v11, off offset:240 ; 4-byte Folded Spill
	v_lshrrev_b32_e32 v14, 4, v115
	buffer_load_dwordx4 v[10:13], v10, s[0:3], 0 offen
	v_bitop3_b32 v110, v14, v0, 15 bitop3:0x78
	v_lshlrev_b32_e32 v14, 8, v114
	v_add_u32_e32 v18, s7, v15
	v_lshl_or_b32 v210, v110, 4, v14
	v_lshlrev_b32_e32 v14, 1, v18
	buffer_load_dwordx4 v[14:17], v14, s[0:3], 0 offen
	v_add_u32_e32 v22, s7, v18
	v_lshlrev_b32_e32 v18, 1, v22
	buffer_load_dwordx4 v[18:21], v18, s[0:3], 0 offen
	v_add_u32_e32 v26, s7, v22
	;; [unrolled: 3-line block ×3, first 2 shown]
	v_lshlrev_b32_e32 v34, 1, v26
	v_add_u32_e32 v35, s7, v26
	v_lshlrev_b32_e32 v36, 1, v35
	buffer_load_dwordx4 v[26:29], v34, s[0:3], 0 offen
	buffer_load_dwordx4 v[30:33], v36, s[0:3], 0 offen
	v_add_u32_e32 v34, s7, v35
	v_lshlrev_b32_e32 v42, 1, v34
	v_add_u32_e32 v43, s7, v34
	v_lshlrev_b32_e32 v44, 1, v43
	buffer_load_dwordx4 v[34:37], v42, s[0:3], 0 offen
	buffer_load_dwordx4 v[38:41], v44, s[0:3], 0 offen
	v_add_u32_e32 v42, s7, v43
	;; [unrolled: 6-line block ×4, first 2 shown]
	v_lshlrev_b32_e32 v66, 1, v58
	s_ashr_i32 s15, s21, 31
	v_add_lshl_u32 v67, v58, s7, 1
	buffer_load_dwordx4 v[58:61], v66, s[0:3], 0 offen
	buffer_load_dwordx4 v[62:65], v67, s[0:3], 0 offen
	s_lshr_b32 s15, s15, 27
	s_add_i32 s21, s21, s15
	s_ashr_i32 s23, s21, 5
	v_lshlrev_b32_e32 v211, 4, v114
	v_mul_lo_u32 v104, v103, s8
	s_add_u32 s15, 0, 0
	v_add_u32_e32 v74, v104, v211
	s_addc_u32 s14, s10, s14
	s_and_b32 s13, s13, 0xffff
	s_mov_b32 s15, s3
	v_add_u32_e32 v75, s8, v74
	buffer_load_dwordx4 v[66:69], v74, s[12:15], 0 offen
	buffer_load_dwordx4 v[70:73], v75, s[12:15], 0 offen
	v_add_u32_e32 v82, s8, v75
	v_add_u32_e32 v83, s8, v82
	buffer_load_dwordx4 v[74:77], v82, s[12:15], 0 offen
	buffer_load_dwordx4 v[78:81], v83, s[12:15], 0 offen
	v_add_u32_e32 v90, s8, v83
	;; [unrolled: 4-line block ×3, first 2 shown]
	v_add_u32_e32 v112, s8, v111
	buffer_load_dwordx4 v[90:93], v111, s[12:15], 0 offen
	buffer_load_dwordx4 v[94:97], v112, s[12:15], 0 offen
	v_lshlrev_b32_e32 v111, 1, v102
	s_movk_i32 s10, 0x200
	s_mov_b32 s21, s14
	s_movk_i32 s14, 0xd00
	v_and_b32_e32 v105, 8, v1
	v_lshrrev_b32_e32 v108, 3, v115
	s_movk_i32 s24, 0xfa00
	v_bitop3_b32 v109, v0, v108, 15 bitop3:0x6c
	s_waitcnt vmcnt(24)
	ds_write_b128 v111, v[2:5]
	v_bitop3_b32 v2, v98, v113, 1 bitop3:0x36
	v_bitop3_b32 v4, v98, v113, 2 bitop3:0x36
	v_sub_u32_e32 v3, v2, v101
	v_sub_u32_e32 v2, v4, v2
	v_lshlrev_b32_e32 v112, 3, v3
	v_lshl_add_u32 v3, v3, 4, v111
	v_lshlrev_b32_e32 v5, 3, v2
	v_lshlrev_b32_e32 v2, 4, v2
	s_waitcnt vmcnt(23)
	ds_write_b128 v3, v[6:9] offset:512
	v_add3_u32 v2, v3, s10, v2
	v_bitop3_b32 v3, v98, v113, 3 bitop3:0x36
	v_sub_u32_e32 v4, v3, v4
	v_lshlrev_b32_e32 v6, 3, v4
	v_lshlrev_b32_e32 v4, 4, v4
	s_waitcnt vmcnt(21)
	ds_write_b128 v2, v[10:13] offset:512
	v_add3_u32 v2, v2, s10, v4
	v_bitop3_b32 v4, v98, v113, 4 bitop3:0x36
	v_sub_u32_e32 v3, v4, v3
	;; [unrolled: 7-line block ×11, first 2 shown]
	v_add3_u32 v7, v5, v112, v6
	v_lshlrev_b32_e32 v17, 3, v4
	v_lshlrev_b32_e32 v4, 4, v4
	v_add3_u32 v7, v8, v7, v9
	s_waitcnt vmcnt(11)
	ds_write_b128 v2, v[50:53] offset:512
	v_add3_u32 v2, v2, s10, v4
	v_bitop3_b32 v4, v98, v113, 14 bitop3:0x36
	v_or_b32_e32 v19, 15, v1
	v_add3_u32 v7, v10, v7, v11
	v_sub_u32_e32 v3, v4, v3
	v_bitop3_b32 v19, v19, 31, v0 bitop3:0x48
	v_add3_u32 v7, v12, v7, v13
	v_lshlrev_b32_e32 v18, 3, v3
	v_sub_u32_e32 v20, v19, v4
	v_lshlrev_b32_e32 v3, 4, v3
	v_add3_u32 v7, v14, v7, v15
	s_waitcnt vmcnt(10)
	ds_write_b128 v2, v[54:57] offset:512
	v_add3_u32 v2, v2, s10, v3
	v_lshlrev_b32_e32 v3, 4, v20
	v_add3_u32 v7, v16, v7, v17
	s_waitcnt vmcnt(9)
	ds_write_b128 v2, v[58:61] offset:512
	v_add3_u32 v2, v2, s10, v3
	v_lshlrev_b32_e32 v21, 3, v20
	v_add3_u32 v7, v18, v7, s14
	s_waitcnt vmcnt(8)
	ds_write_b128 v2, v[62:65] offset:512
	v_sub_u32_e32 v2, v101, v19
	v_add3_u32 v21, v7, v102, v21
	v_lshlrev_b32_e32 v2, 3, v2
	s_movk_i32 s14, 0xf300
	v_add3_u32 v177, v21, v2, s14
	v_bitop3_b32 v2, v105, v114, 1 bitop3:0x36
	v_sub_u32_e32 v3, v2, v106
	v_lshlrev_b32_e32 v37, 4, v3
	v_add_u32_e32 v3, v107, v37
	s_waitcnt vmcnt(7)
	ds_write_b128 v107, v[66:69] offset:16384
	v_add_u32_e32 v19, 0x100, v3
	s_waitcnt vmcnt(6)
	ds_write_b128 v3, v[70:73] offset:16640
	v_bitop3_b32 v3, v105, v114, 2 bitop3:0x36
	v_sub_u32_e32 v2, v3, v2
	v_lshlrev_b32_e32 v2, 4, v2
	v_add_u32_e32 v38, 0x100, v2
	v_add_u32_e32 v20, v38, v19
	;; [unrolled: 1-line block ×3, first 2 shown]
	v_bitop3_b32 v19, v105, v114, 3 bitop3:0x36
	v_sub_u32_e32 v3, v19, v3
	v_mov_b32_e32 v21, 0x100
	v_lshl_add_u32 v39, v3, 4, v21
	v_bitop3_b32 v3, v105, v114, 4 bitop3:0x36
	v_sub_u32_e32 v19, v3, v19
	v_lshl_add_u32 v40, v19, 4, v21
	v_add3_u32 v19, v20, v39, v40
	v_bitop3_b32 v20, v105, v114, 5 bitop3:0x36
	v_sub_u32_e32 v3, v20, v3
	s_waitcnt vmcnt(5)
	ds_write_b128 v2, v[74:77] offset:16640
	v_add_u32_e32 v2, v2, v39
	v_lshl_add_u32 v41, v3, 4, v21
	v_bitop3_b32 v3, v105, v114, 6 bitop3:0x36
	s_waitcnt vmcnt(4)
	ds_write_b128 v2, v[78:81] offset:16640
	v_add_u32_e32 v2, v2, v40
	v_sub_u32_e32 v20, v3, v20
	s_waitcnt vmcnt(3)
	ds_write_b128 v2, v[82:85] offset:16640
	v_add_u32_e32 v2, v2, v41
	v_lshl_add_u32 v42, v20, 4, v21
	v_or_b32_e32 v1, 7, v1
	s_waitcnt vmcnt(2)
	ds_write_b128 v2, v[86:89] offset:16640
	v_add_u32_e32 v2, v2, v42
	v_bitop3_b32 v1, v1, 15, v0 bitop3:0x48
	v_add3_u32 v19, v19, v41, v42
	s_waitcnt vmcnt(1)
	ds_write_b128 v2, v[90:93] offset:16640
	v_sub_u32_e32 v2, v1, v3
	v_sub_u32_e32 v1, v106, v1
	v_lshl_add_u32 v2, v2, 4, v19
	v_lshlrev_b32_e32 v1, 4, v1
	s_waitcnt vmcnt(0)
	ds_write_b128 v2, v[94:97] offset:16640
	v_add3_u32 v187, v2, v1, s24
	v_bitop3_b32 v2, v108, v114, 1 bitop3:0x36
	v_sub_u32_e32 v2, v2, v109
	v_lshlrev_b32_e32 v19, 4, v2
	v_or_b32_e32 v2, 16, v115
	v_lshrrev_b32_e32 v20, 3, v2
	v_lshrrev_b32_e32 v2, 4, v2
	v_bitop3_b32 v2, v2, v0, 15 bitop3:0x78
	v_or_b32_e32 v24, 32, v115
	v_sub_u32_e32 v2, v2, v110
	v_lshlrev_b32_e32 v34, 4, v2
	v_lshrrev_b32_e32 v2, 4, v24
	v_bitop3_b32 v2, v2, v0, 15 bitop3:0x78
	v_or_b32_e32 v29, 48, v115
	v_sub_u32_e32 v2, v2, v110
	v_lshrrev_b32_e32 v25, 3, v24
	v_lshlrev_b32_e32 v24, 4, v2
	v_lshrrev_b32_e32 v2, 4, v29
	v_bitop3_b32 v2, v2, v0, 15 bitop3:0x78
	v_sub_u32_e32 v2, v2, v110
	v_lshrrev_b32_e32 v30, 3, v29
	v_lshlrev_b32_e32 v29, 4, v2
	v_bitop3_b32 v2, v114, v108, 16 bitop3:0x36
	v_sub_u32_e32 v2, v2, v109
	v_lshlrev_b32_e32 v35, 4, v2
	v_bitop3_b32 v2, v114, v20, 16 bitop3:0x36
	v_or_b32_e32 v22, 3, v108
	v_sub_u32_e32 v2, v2, v109
	v_bitop3_b32 v21, v20, v0, 15 bitop3:0x78
	v_lshlrev_b32_e32 v20, 4, v2
	v_bitop3_b32 v2, v114, v22, 16 bitop3:0x36
	v_sub_u32_e32 v2, v2, v109
	v_lshlrev_b32_e32 v22, 4, v2
	v_bitop3_b32 v2, v114, v25, 16 bitop3:0x36
	v_or_b32_e32 v27, 5, v108
	v_sub_u32_e32 v2, v2, v109
	v_bitop3_b32 v26, v25, v0, 15 bitop3:0x78
	;; [unrolled: 8-line block ×3, first 2 shown]
	v_lshlrev_b32_e32 v30, 4, v2
	v_bitop3_b32 v2, v114, v32, 16 bitop3:0x36
	v_sub_u32_e32 v2, v2, v109
	v_lshlrev_b32_e32 v32, 4, v2
	v_bitop3_b32 v2, v98, v113, 15 bitop3:0x36
	v_sub_u32_e32 v4, v2, v4
	v_lshlrev_b32_e32 v4, 3, v4
	v_sub_u32_e32 v2, v101, v2
	v_lshlrev_b32_e32 v2, 3, v2
	v_add_u32_e32 v7, v7, v4
	v_add3_u32 v2, v7, v2, s14
	scratch_store_dword off, v112, off offset:184 ; 4-byte Folded Spill
	scratch_store_dword off, v115, off offset:236 ; 4-byte Folded Spill
	;; [unrolled: 1-line block ×8, first 2 shown]
	v_add3_u32 v2, v37, v38, v39
	s_movk_i32 s15, 0x100
	v_bitop3_b32 v36, v105, v114, 7 bitop3:0x36
	v_add3_u32 v2, v2, v40, v41
	v_sub_u32_e32 v3, v36, v3
	v_add3_u32 v2, v2, v42, s15
	v_lshlrev_b32_e32 v0, 4, v3
	scratch_store_dword off, v40, off offset:200 ; 4-byte Folded Spill
	scratch_store_dword off, v41, off offset:204 ; 4-byte Folded Spill
	;; [unrolled: 1-line block ×5, first 2 shown]
	v_or_b32_e32 v2, 7, v103
	v_mul_lo_u32 v2, s8, v2
	v_add_u32_e32 v192, 0x100, v2
	v_or_b32_e32 v2, 6, v103
	v_mul_lo_u32 v2, s8, v2
	v_add_u32_e32 v193, 0x100, v2
	;; [unrolled: 3-line block ×3, first 2 shown]
	v_or_b32_e32 v2, 4, v103
	v_mul_lo_u32 v2, s8, v2
	v_sub_u32_e32 v3, v106, v36
	v_add_u32_e32 v195, 0x100, v2
	v_or_b32_e32 v2, 3, v103
	v_lshlrev_b32_e32 v3, 4, v3
	v_mul_lo_u32 v2, s8, v2
	v_add3_u32 v0, v3, v0, s24
	v_add_u32_e32 v196, 0x100, v2
	v_or_b32_e32 v2, 2, v103
	scratch_store_dword off, v0, off offset:224 ; 4-byte Folded Spill
	v_mul_lo_u32 v2, s8, v2
	v_or_b32_e32 v0, 15, v99
	v_add_u32_e32 v197, 0x100, v2
	v_mul_lo_u32 v0, s7, v0
	v_mov_b32_e32 v2, 0x200
	v_lshl_add_u32 v201, v0, 1, v2
	v_or_b32_e32 v0, 14, v99
	v_mul_lo_u32 v0, s7, v0
	v_lshl_add_u32 v202, v0, 1, v2
	v_or_b32_e32 v0, 13, v99
	v_mul_lo_u32 v0, s7, v0
	;; [unrolled: 3-line block ×12, first 2 shown]
	v_lshl_add_u32 v219, v0, 1, v2
	v_or_b32_e32 v0, 2, v99
	v_lshlrev_b32_e32 v1, 9, v114
	v_mul_lo_u32 v0, s7, v0
	v_lshl_or_b32 v185, v109, 4, v1
	v_sub_u32_e32 v21, v21, v109
	v_lshl_add_u32 v220, v0, 1, v2
	v_add_u32_e32 v0, s7, v100
	v_lshlrev_b32_e32 v21, 4, v21
	v_sub_u32_e32 v26, v26, v109
	v_bitop3_b32 v28, v108, v114, 5 bitop3:0x36
	v_lshl_add_u32 v221, v0, 1, v2
	v_add_u32_e32 v0, v185, v19
	v_lshlrev_b32_e32 v26, 4, v26
	v_sub_u32_e32 v28, v28, v109
	scratch_store_dword off, v0, off offset:160 ; 4-byte Folded Spill
	v_add_u32_e32 v0, v185, v21
	v_lshlrev_b32_e32 v28, 4, v28
	v_sub_u32_e32 v31, v31, v109
	v_bitop3_b32 v33, v108, v114, 7 bitop3:0x36
	scratch_store_dword off, v0, off offset:180 ; 4-byte Folded Spill
	v_add_u32_e32 v0, v185, v26
	v_or_b32_e32 v1, 1, v108
	v_lshlrev_b32_e32 v31, 4, v31
	v_sub_u32_e32 v33, v33, v109
	scratch_store_dword off, v0, off offset:164 ; 4-byte Folded Spill
	v_add_u32_e32 v0, v185, v28
	v_lshlrev_b32_e32 v33, 4, v33
	v_bitop3_b32 v1, v114, v1, 16 bitop3:0x36
	scratch_store_dword off, v0, off offset:168 ; 4-byte Folded Spill
	v_add_u32_e32 v0, v185, v31
	v_sub_u32_e32 v1, v1, v109
	scratch_store_dword off, v0, off offset:172 ; 4-byte Folded Spill
	v_add_u32_e32 v0, v185, v33
	v_lshlrev_b32_e32 v1, 4, v1
	scratch_store_dword off, v0, off offset:176 ; 4-byte Folded Spill
	v_add_u32_e32 v0, v185, v35
	scratch_store_dword off, v0, off offset:128 ; 4-byte Folded Spill
	v_add_u32_e32 v0, v185, v1
	;; [unrolled: 2-line block ×5, first 2 shown]
	v_bitop3_b32 v23, v108, v114, 3 bitop3:0x36
	scratch_store_dword off, v0, off offset:144 ; 4-byte Folded Spill
	v_add_u32_e32 v0, v185, v27
	v_sub_u32_e32 v23, v23, v109
	scratch_store_dword off, v0, off offset:148 ; 4-byte Folded Spill
	v_add_u32_e32 v0, v185, v30
	s_max_i32 s23, s23, 2
	v_lshlrev_b32_e32 v23, 4, v23
	v_add_u32_e32 v198, 0x100, v104
	v_lshl_add_u32 v222, v100, 1, v2
	v_mov_b32_e32 v2, 0
	scratch_store_dword off, v0, off offset:152 ; 4-byte Folded Spill
	v_add_u32_e32 v0, v185, v32
	v_add_u32_e32 v199, s8, v198
	v_lshlrev_b32_e32 v200, 4, v113
	s_add_i32 s7, s23, -1
	v_add_u32_e32 v215, v185, v23
	v_add_u32_e32 v186, v34, v210
	;; [unrolled: 1-line block ×4, first 2 shown]
	scratch_store_dword off, v0, off offset:156 ; 4-byte Folded Spill
	v_lshlrev_b32_e32 v223, 1, v5
	v_lshlrev_b32_e32 v175, 1, v6
	;; [unrolled: 1-line block ×14, first 2 shown]
	s_mov_b32 s14, s21
	s_mov_b32 s15, s3
	v_mov_b32_e32 v3, v2
	v_mov_b32_e32 v4, v2
	;; [unrolled: 1-line block ×15, first 2 shown]
.LBB2_11:                               ; =>This Inner Loop Header: Depth=1
	v_add_u32_e32 v7, v200, v222
	buffer_load_dwordx4 v[18:21], v7, s[0:3], 0 offen
	v_add_u32_e32 v8, v200, v221
                                        ; kill: killed $vgpr7
	v_add_u32_e32 v7, v200, v220
                                        ; kill: killed $vgpr8
                                        ; kill: killed $vgpr7
	v_add_u32_e32 v6, v211, v198
	s_waitcnt vmcnt(0)
	scratch_store_dwordx4 off, v[18:21], off offset:64 ; 16-byte Folded Spill
	buffer_load_dwordx4 v[18:21], v8, s[0:3], 0 offen
	v_add_u32_e32 v8, v200, v219
                                        ; kill: killed $vgpr8
	s_waitcnt vmcnt(0)
	scratch_store_dwordx4 off, v[18:21], off ; 16-byte Folded Spill
	buffer_load_dwordx4 v[18:21], v7, s[0:3], 0 offen
	v_add_u32_e32 v7, v200, v218
                                        ; kill: killed $vgpr7
	s_waitcnt vmcnt(0)
	scratch_store_dwordx4 off, v[18:21], off offset:48 ; 16-byte Folded Spill
	buffer_load_dwordx4 v[18:21], v8, s[0:3], 0 offen
	v_add_u32_e32 v8, v200, v217
                                        ; kill: killed $vgpr8
	s_waitcnt vmcnt(0)
	scratch_store_dwordx4 off, v[18:21], off offset:16 ; 16-byte Folded Spill
	buffer_load_dwordx4 v[18:21], v7, s[0:3], 0 offen
	v_add_u32_e32 v7, v200, v216
                                        ; kill: killed $vgpr7
	s_waitcnt vmcnt(0)
	scratch_store_dwordx4 off, v[18:21], off offset:80 ; 16-byte Folded Spill
	buffer_load_dwordx4 v[18:21], v8, s[0:3], 0 offen
	v_add_u32_e32 v8, v200, v213
                                        ; kill: killed $vgpr8
	s_waitcnt vmcnt(0)
	scratch_store_dwordx4 off, v[18:21], off offset:32 ; 16-byte Folded Spill
	buffer_load_dwordx4 v[18:21], v7, s[0:3], 0 offen
	v_add_u32_e32 v7, v200, v208
	s_waitcnt vmcnt(0)
	scratch_store_dwordx4 off, v[18:21], off offset:112 ; 16-byte Folded Spill
	buffer_load_dwordx4 v[18:21], v8, s[0:3], 0 offen
	v_add_u32_e32 v8, v200, v207
	s_waitcnt vmcnt(0)
	scratch_store_dwordx4 off, v[18:21], off offset:96 ; 16-byte Folded Spill
	buffer_load_dwordx4 v[54:57], v7, s[0:3], 0 offen
	buffer_load_dwordx4 v[50:53], v8, s[0:3], 0 offen
	v_add_u32_e32 v7, v200, v206
	v_add_u32_e32 v8, v200, v205
	buffer_load_dwordx4 v[62:65], v7, s[0:3], 0 offen
	buffer_load_dwordx4 v[58:61], v8, s[0:3], 0 offen
	v_add_u32_e32 v7, v200, v204
	v_add_u32_e32 v8, v200, v203
	;; [unrolled: 4-line block ×3, first 2 shown]
	buffer_load_dwordx4 v[78:81], v7, s[0:3], 0 offen
	buffer_load_dwordx4 v[74:77], v8, s[0:3], 0 offen
	v_add_u32_e32 v7, v211, v199
	buffer_load_dwordx4 v[82:85], v6, s[12:15], 0 offen
	buffer_load_dwordx4 v[86:89], v7, s[12:15], 0 offen
	v_add_u32_e32 v6, v211, v197
	v_add_u32_e32 v7, v211, v196
	buffer_load_dwordx4 v[90:93], v6, s[12:15], 0 offen
	buffer_load_dwordx4 v[94:97], v7, s[12:15], 0 offen
	v_add_u32_e32 v6, v211, v195
	;; [unrolled: 4-line block ×3, first 2 shown]
	v_add_u32_e32 v7, v211, v192
	buffer_load_dwordx4 v[106:109], v6, s[12:15], 0 offen
	buffer_load_dwordx4 v[110:113], v7, s[12:15], 0 offen
	s_waitcnt lgkmcnt(0)
	; wave barrier
	ds_read_b128 v[146:149], v210 offset:16384
	ds_read_b128 v[138:141], v185
	scratch_load_dword v6, off, off offset:180 ; 4-byte Folded Reload
	s_waitcnt vmcnt(0)
	ds_read_b128 v[134:137], v6
	ds_read_b128 v[130:133], v215
	scratch_load_dword v8, off, off offset:164 ; 4-byte Folded Reload
	scratch_load_dword v22, off, off offset:160 ; 4-byte Folded Reload
	s_waitcnt lgkmcnt(3)
	v_and_b32_e32 v6, 0xffff, v146
	v_cvt_pk_f32_fp8_e32 v[6:7], v6
	v_lshrrev_b32_e32 v18, 16, v147
	v_cvt_pk_f32_fp8_e32 v[18:19], v18
	v_and_b32_e32 v20, 0xffff, v148
	v_cvt_pkrtz_f16_f32 v142, v6, v7
	v_lshrrev_b32_e32 v6, 16, v146
	v_cvt_pk_f32_fp8_e32 v[6:7], v6
	v_cvt_pkrtz_f16_f32 v145, v18, v19
	ds_read_b128 v[154:157], v186 offset:16384
	ds_read_b128 v[238:241], v186 offset:20480
	v_cvt_pkrtz_f16_f32 v143, v6, v7
	v_lshrrev_b32_e32 v6, 16, v148
	v_lshrrev_b32_e32 v18, 16, v149
	v_cvt_pk_f32_fp8_e32 v[20:21], v20
	v_cvt_pk_f32_fp8_e32 v[6:7], v6
	;; [unrolled: 1-line block ×3, first 2 shown]
	ds_read_b128 v[250:253], v176 offset:16384
	v_cvt_pkrtz_f16_f32 v146, v20, v21
	s_waitcnt lgkmcnt(2)
	v_and_b32_e32 v20, 0xffff, v154
	v_cvt_pk_f32_fp8_e32 v[20:21], v20
	ds_read_b128 v[166:169], v176 offset:20480
	ds_read_b128 v[242:245], v179 offset:16384
	;; [unrolled: 1-line block ×3, first 2 shown]
	v_cvt_pkrtz_f16_f32 v150, v20, v21
	v_and_b32_e32 v20, 0xffff, v156
	v_cvt_pk_f32_fp8_e32 v[20:21], v20
	s_waitcnt vmcnt(1)
	ds_read_b128 v[126:129], v8
	scratch_load_dword v8, off, off offset:168 ; 4-byte Folded Reload
	s_waitcnt vmcnt(0)
	ds_read_b128 v[122:125], v8
	scratch_load_dword v8, off, off offset:172 ; 4-byte Folded Reload
	;; [unrolled: 3-line block ×3, first 2 shown]
	s_waitcnt vmcnt(0)
	ds_read_b128 v[114:117], v8
	v_and_b32_e32 v8, 0xffff, v147
	v_cvt_pk_f32_fp8_e32 v[8:9], v8
	v_cvt_pkrtz_f16_f32 v147, v6, v7
	v_lshrrev_b32_e32 v6, 16, v154
	v_cvt_pk_f32_fp8_e32 v[6:7], v6
	v_cvt_pkrtz_f16_f32 v144, v8, v9
	v_and_b32_e32 v8, 0xffff, v149
	v_cvt_pk_f32_fp8_e32 v[8:9], v8
	v_cvt_pkrtz_f16_f32 v149, v18, v19
	v_lshrrev_b32_e32 v18, 16, v155
	v_cvt_pk_f32_fp8_e32 v[18:19], v18
	v_cvt_pkrtz_f16_f32 v148, v8, v9
	v_and_b32_e32 v8, 0xffff, v155
	v_cvt_pk_f32_fp8_e32 v[8:9], v8
	v_cvt_pkrtz_f16_f32 v151, v6, v7
	v_cvt_pkrtz_f16_f32 v153, v18, v19
	v_lshrrev_b32_e32 v6, 16, v156
	v_cvt_pkrtz_f16_f32 v152, v8, v9
	v_and_b32_e32 v8, 0xffff, v157
	v_lshrrev_b32_e32 v18, 16, v157
	v_cvt_pk_f32_fp8_e32 v[6:7], v6
	v_cvt_pk_f32_fp8_e32 v[8:9], v8
	;; [unrolled: 1-line block ×3, first 2 shown]
	v_cvt_pkrtz_f16_f32 v154, v20, v21
	s_waitcnt lgkmcnt(5)
	v_and_b32_e32 v20, 0xffff, v242
	v_cvt_pkrtz_f16_f32 v155, v6, v7
	v_cvt_pkrtz_f16_f32 v156, v8, v9
	;; [unrolled: 1-line block ×3, first 2 shown]
	v_lshrrev_b32_e32 v6, 16, v242
	v_and_b32_e32 v8, 0xffff, v243
	v_lshrrev_b32_e32 v18, 16, v243
	v_cvt_pk_f32_fp8_e32 v[20:21], v20
	v_cvt_pk_f32_fp8_e32 v[6:7], v6
	;; [unrolled: 1-line block ×4, first 2 shown]
	v_cvt_pkrtz_f16_f32 v158, v20, v21
	v_and_b32_e32 v20, 0xffff, v244
	v_cvt_pkrtz_f16_f32 v159, v6, v7
	v_cvt_pkrtz_f16_f32 v160, v8, v9
	;; [unrolled: 1-line block ×3, first 2 shown]
	v_lshrrev_b32_e32 v6, 16, v244
	v_and_b32_e32 v8, 0xffff, v245
	v_lshrrev_b32_e32 v18, 16, v245
	v_cvt_pk_f32_fp8_e32 v[20:21], v20
	v_cvt_pk_f32_fp8_e32 v[6:7], v6
	;; [unrolled: 1-line block ×4, first 2 shown]
	v_cvt_pkrtz_f16_f32 v242, v20, v21
	v_cvt_pkrtz_f16_f32 v243, v6, v7
	v_cvt_pkrtz_f16_f32 v244, v8, v9
	v_cvt_pkrtz_f16_f32 v245, v18, v19
	v_and_b32_e32 v6, 0xffff, v250
	v_lshrrev_b32_e32 v8, 16, v250
	v_and_b32_e32 v18, 0xffff, v251
	v_lshrrev_b32_e32 v20, 16, v251
	v_cvt_pk_f32_fp8_e32 v[6:7], v6
	v_cvt_pk_f32_fp8_e32 v[8:9], v8
	;; [unrolled: 1-line block ×4, first 2 shown]
	v_cvt_pkrtz_f16_f32 v170, v6, v7
	v_cvt_pkrtz_f16_f32 v171, v8, v9
	;; [unrolled: 1-line block ×4, first 2 shown]
	v_and_b32_e32 v6, 0xffff, v252
	v_lshrrev_b32_e32 v8, 16, v252
	v_and_b32_e32 v18, 0xffff, v253
	v_lshrrev_b32_e32 v20, 16, v253
	ds_read_b128 v[250:253], v22
	ds_read_b128 v[180:183], v210 offset:20480
	v_cvt_pk_f32_fp8_e32 v[6:7], v6
	v_cvt_pk_f32_fp8_e32 v[18:19], v18
	;; [unrolled: 1-line block ×4, first 2 shown]
	v_cvt_pkrtz_f16_f32 v188, v6, v7
	v_cvt_pkrtz_f16_f32 v190, v18, v19
	s_waitcnt lgkmcnt(0)
	v_and_b32_e32 v6, 0xffff, v180
	v_and_b32_e32 v18, 0xffff, v181
	v_cvt_pk_f32_fp8_e32 v[6:7], v6
	v_cvt_pk_f32_fp8_e32 v[18:19], v18
	v_cvt_pkrtz_f16_f32 v189, v8, v9
	v_lshrrev_b32_e32 v8, 16, v180
	v_cvt_pkrtz_f16_f32 v224, v6, v7
	v_cvt_pkrtz_f16_f32 v226, v18, v19
	v_and_b32_e32 v6, 0xffff, v182
	v_and_b32_e32 v18, 0xffff, v183
	v_cvt_pk_f32_fp8_e32 v[8:9], v8
	v_cvt_pk_f32_fp8_e32 v[6:7], v6
	;; [unrolled: 1-line block ×3, first 2 shown]
	v_cvt_pkrtz_f16_f32 v191, v20, v21
	v_cvt_pkrtz_f16_f32 v225, v8, v9
	v_lshrrev_b32_e32 v8, 16, v182
	v_cvt_pkrtz_f16_f32 v180, v6, v7
	v_cvt_pkrtz_f16_f32 v182, v18, v19
	v_and_b32_e32 v6, 0xffff, v238
	v_and_b32_e32 v18, 0xffff, v239
	v_cvt_pk_f32_fp8_e32 v[8:9], v8
	v_cvt_pk_f32_fp8_e32 v[6:7], v6
	;; [unrolled: 1-line block ×3, first 2 shown]
	v_lshrrev_b32_e32 v20, 16, v181
	v_cvt_pkrtz_f16_f32 v181, v8, v9
	v_lshrrev_b32_e32 v8, 16, v238
	v_cvt_pkrtz_f16_f32 v228, v6, v7
	v_cvt_pkrtz_f16_f32 v230, v18, v19
	v_and_b32_e32 v6, 0xffff, v240
	v_and_b32_e32 v18, 0xffff, v241
	v_cvt_pk_f32_fp8_e32 v[20:21], v20
	v_cvt_pk_f32_fp8_e32 v[8:9], v8
	v_cvt_pk_f32_fp8_e32 v[6:7], v6
	v_cvt_pk_f32_fp8_e32 v[18:19], v18
	v_cvt_pkrtz_f16_f32 v227, v20, v21
	v_lshrrev_b32_e32 v20, 16, v183
	v_cvt_pkrtz_f16_f32 v229, v8, v9
	v_lshrrev_b32_e32 v8, 16, v240
	v_cvt_pkrtz_f16_f32 v238, v6, v7
	v_cvt_pkrtz_f16_f32 v240, v18, v19
	v_and_b32_e32 v6, 0xffff, v246
	v_and_b32_e32 v18, 0xffff, v247
	v_cvt_pk_f32_fp8_e32 v[20:21], v20
	v_cvt_pk_f32_fp8_e32 v[8:9], v8
	v_cvt_pk_f32_fp8_e32 v[6:7], v6
	v_cvt_pk_f32_fp8_e32 v[18:19], v18
	v_cvt_pkrtz_f16_f32 v183, v20, v21
	;; [unrolled: 12-line block ×4, first 2 shown]
	v_lshrrev_b32_e32 v20, 16, v247
	v_cvt_pkrtz_f16_f32 v247, v8, v9
	v_lshrrev_b32_e32 v8, 16, v166
	v_cvt_pkrtz_f16_f32 v162, v6, v7
	v_cvt_pkrtz_f16_f32 v164, v18, v19
	v_and_b32_e32 v6, 0xffff, v168
	v_and_b32_e32 v18, 0xffff, v169
	v_cvt_pk_f32_fp8_e32 v[8:9], v8
	v_cvt_pk_f32_fp8_e32 v[6:7], v6
	;; [unrolled: 1-line block ×3, first 2 shown]
	scratch_load_dword v22, off, off offset:136 ; 4-byte Folded Reload
	scratch_load_dword v26, off, off offset:140 ; 4-byte Folded Reload
	;; [unrolled: 1-line block ×6, first 2 shown]
	v_cvt_pkrtz_f16_f32 v163, v8, v9
	v_lshrrev_b32_e32 v8, 16, v168
	v_cvt_pkrtz_f16_f32 v166, v6, v7
	v_cvt_pkrtz_f16_f32 v168, v18, v19
	scratch_load_dword v6, off, off offset:128 ; 4-byte Folded Reload
	scratch_load_dword v18, off, off offset:132 ; 4-byte Folded Reload
	v_cvt_pk_f32_fp8_e32 v[20:21], v20
	v_cvt_pk_f32_fp8_e32 v[8:9], v8
	v_cvt_pkrtz_f16_f32 v235, v20, v21
	v_lshrrev_b32_e32 v20, 16, v249
	v_cvt_pk_f32_fp8_e32 v[20:21], v20
	v_cvt_pkrtz_f16_f32 v249, v20, v21
	v_lshrrev_b32_e32 v20, 16, v167
	v_cvt_pk_f32_fp8_e32 v[20:21], v20
	v_cvt_pkrtz_f16_f32 v167, v8, v9
	v_cvt_pkrtz_f16_f32 v165, v20, v21
	v_lshrrev_b32_e32 v20, 16, v169
	v_cvt_pk_f32_fp8_e32 v[20:21], v20
	v_cvt_pkrtz_f16_f32 v169, v20, v21
	s_waitcnt vmcnt(7)
	ds_read_b128 v[22:25], v22 offset:8192
	s_waitcnt vmcnt(6)
	ds_read_b128 v[26:29], v26 offset:8192
	;; [unrolled: 2-line block ×8, first 2 shown]
	; sched_barrier mask(0x00000000)
	; wave barrier
	; sched_barrier mask(0x00000000)
	v_mfma_f32_16x16x32_f16 v[14:17], v[138:141], v[142:145], v[14:17]
	v_mfma_f32_16x16x32_f16 v[14:17], v[250:253], v[146:149], v[14:17]
	; sched_barrier mask(0x00000000)
	s_setprio 1
	; sched_barrier mask(0x00000000)
	v_mfma_f32_16x16x32_f16 v[10:13], v[138:141], v[224:227], v[10:13]
	v_mfma_f32_16x16x32_f16 v[10:13], v[250:253], v[180:183], v[10:13]
	s_waitcnt lgkmcnt(1)
	v_mfma_f32_16x16x32_f16 v[46:49], v[6:9], v[142:145], v[46:49]
	v_mfma_f32_16x16x32_f16 v[2:5], v[6:9], v[224:227], v[2:5]
	;; [unrolled: 1-line block ×3, first 2 shown]
	s_waitcnt lgkmcnt(0)
	v_mfma_f32_16x16x32_f16 v[46:49], v[18:21], v[146:149], v[46:49]
	v_mfma_f32_16x16x32_f16 v[6:9], v[130:133], v[154:157], v[6:9]
	;; [unrolled: 1-line block ×23, first 2 shown]
	; sched_barrier mask(0x00000000)
	s_waitcnt lgkmcnt(0)
	; wave barrier
	; sched_barrier mask(0x00000000)
	v_mfma_f32_16x16x32_f16 v[2:5], v[38:41], v[162:165], v[2:5]
	v_mfma_f32_16x16x32_f16 v[2:5], v[42:45], v[166:169], v[2:5]
	; sched_barrier mask(0x00000000)
	s_setprio 0
	; sched_barrier mask(0x00000000)
	s_nop 1
	scratch_load_dword v7, off, off offset:216 ; 4-byte Folded Reload
	scratch_load_dwordx4 v[18:21], off, off offset:64 ; 16-byte Folded Reload
	v_lshlrev_b32_e32 v6, 1, v177
	scratch_load_dword v9, off, off offset:184 ; 4-byte Folded Reload
	s_add_i32 s7, s7, -1
	v_add_u32_e32 v192, 0x100, v192
	v_add_u32_e32 v193, 0x100, v193
	;; [unrolled: 1-line block ×24, first 2 shown]
	s_cmp_lg_u32 s7, 0
	scratch_load_dword v8, off, off offset:220 ; 4-byte Folded Reload
	s_waitcnt vmcnt(3)
	v_add_u32_e32 v177, v177, v7
	s_waitcnt vmcnt(2)
	ds_write_b128 v6, v[18:21]
	scratch_load_dword v18, off, off offset:212 ; 4-byte Folded Reload
	scratch_load_dwordx4 v[20:23], off, off ; 16-byte Folded Reload
	s_waitcnt vmcnt(3)
	v_lshl_add_u32 v6, v9, 1, v6
	scratch_load_dword v19, off, off offset:196 ; 4-byte Folded Reload
	scratch_load_dword v7, off, off offset:188 ; 4-byte Folded Reload
	;; [unrolled: 1-line block ×3, first 2 shown]
	s_waitcnt vmcnt(5)
	v_add_u32_e32 v8, v187, v8
	s_waitcnt vmcnt(4)
	v_add_u32_e32 v18, v18, v8
	s_waitcnt vmcnt(3)
	ds_write_b128 v6, v[20:23] offset:512
	scratch_load_dwordx4 v[20:23], off, off offset:48 ; 16-byte Folded Reload
	v_add3_u32 v6, v6, s10, v223
	s_waitcnt vmcnt(0)
	ds_write_b128 v6, v[20:23] offset:512
	scratch_load_dwordx4 v[22:25], off, off offset:16 ; 16-byte Folded Reload
	v_add3_u32 v6, v6, s10, v175
	scratch_load_dword v20, off, off offset:200 ; 4-byte Folded Reload
	scratch_load_dword v21, off, off offset:204 ; 4-byte Folded Reload
	v_add_u32_e32 v7, v187, v7
	s_waitcnt vmcnt(2)
	ds_write_b128 v6, v[22:25] offset:512
	scratch_load_dwordx4 v[22:25], off, off offset:80 ; 16-byte Folded Reload
	v_add3_u32 v6, v6, s10, v178
	s_waitcnt vmcnt(0)
	ds_write_b128 v6, v[22:25] offset:512
	scratch_load_dwordx4 v[24:27], off, off offset:32 ; 16-byte Folded Reload
	v_add3_u32 v6, v6, s10, v0
	scratch_load_dword v22, off, off offset:208 ; 4-byte Folded Reload
	v_add_u32_e32 v9, v7, v9
	v_add_u32_e32 v19, v9, v19
	;; [unrolled: 1-line block ×3, first 2 shown]
	s_waitcnt vmcnt(1)
	ds_write_b128 v6, v[24:27] offset:512
	scratch_load_dwordx4 v[24:27], off, off offset:112 ; 16-byte Folded Reload
	v_add3_u32 v6, v6, s10, v1
	s_waitcnt vmcnt(0)
	ds_write_b128 v6, v[24:27] offset:512
	scratch_load_dwordx4 v[24:27], off, off offset:96 ; 16-byte Folded Reload
	v_add3_u32 v6, v6, s10, v212
	v_add_u32_e32 v21, v20, v21
	v_add_u32_e32 v22, v21, v22
	s_waitcnt vmcnt(0)
	ds_write_b128 v6, v[24:27] offset:512
	v_add3_u32 v6, v6, s10, v214
	ds_write_b128 v6, v[54:57] offset:512
	v_add3_u32 v6, v6, s10, v184
	;; [unrolled: 2-line block ×8, first 2 shown]
	ds_write_b128 v6, v[74:77] offset:512
	ds_write_b128 v187, v[82:85] offset:16384
	ds_write_b128 v7, v[86:89] offset:16640
	ds_write_b128 v9, v[90:93] offset:16640
	ds_write_b128 v19, v[94:97] offset:16640
	ds_write_b128 v20, v[98:101] offset:16640
	ds_write_b128 v21, v[102:105] offset:16640
	ds_write_b128 v22, v[106:109] offset:16640
	ds_write_b128 v18, v[110:113] offset:16640
	scratch_load_dword v6, off, off offset:224 ; 4-byte Folded Reload
	s_waitcnt vmcnt(0)
	v_add_u32_e32 v187, v8, v6
	s_cbranch_scc1 .LBB2_11
; %bb.12:
	s_waitcnt lgkmcnt(0)
	; wave barrier
	ds_read_b128 v[38:41], v185
	ds_read_b128 v[50:53], v210 offset:16384
	scratch_load_dword v0, off, off offset:180 ; 4-byte Folded Reload
	s_lshl_b64 s[0:1], s[18:19], 1
	s_add_u32 s12, s16, s0
	s_mul_i32 s0, s20, s9
	s_waitcnt lgkmcnt(0)
	v_and_b32_e32 v43, 0xffff, v51
	v_cvt_pk_f32_fp8_e32 v[44:45], v43
	v_lshrrev_b32_e32 v43, 16, v51
	s_mul_hi_u32 s3, 0, s9
	s_addc_u32 s2, s17, s1
	v_cvt_pkrtz_f16_f32 v44, v44, v45
	s_add_i32 s3, s3, s0
	s_waitcnt vmcnt(0)
	ds_read_b128 v[34:37], v0
	ds_read_b128 v[30:33], v215
	scratch_load_dword v6, off, off offset:164 ; 4-byte Folded Reload
	v_and_b32_e32 v0, 0xffff, v50
	v_cvt_pk_f32_fp8_e32 v[0:1], v0
	ds_read_b128 v[58:61], v186 offset:16384
	ds_read_b128 v[70:73], v179 offset:16384
	;; [unrolled: 1-line block ×3, first 2 shown]
	v_cvt_pkrtz_f16_f32 v42, v0, v1
	v_lshrrev_b32_e32 v0, 16, v50
	v_cvt_pk_f32_fp8_e32 v[50:51], v43
	v_and_b32_e32 v43, 0xffff, v52
	v_cvt_pk_f32_fp8_e32 v[54:55], v43
	v_cvt_pk_f32_fp8_e32 v[0:1], v0
	v_cvt_pkrtz_f16_f32 v45, v50, v51
	v_and_b32_e32 v51, 0xffff, v53
	v_cvt_pkrtz_f16_f32 v50, v54, v55
	v_cvt_pk_f32_fp8_e32 v[54:55], v51
	v_lshrrev_b32_e32 v51, 16, v53
	v_cvt_pkrtz_f16_f32 v43, v0, v1
	v_lshrrev_b32_e32 v0, 16, v52
	v_cvt_pk_f32_fp8_e32 v[56:57], v51
	v_cvt_pk_f32_fp8_e32 v[0:1], v0
	s_waitcnt lgkmcnt(2)
	v_and_b32_e32 v51, 0xffff, v58
	v_cvt_pk_f32_fp8_e32 v[62:63], v51
	v_cvt_pkrtz_f16_f32 v52, v54, v55
	v_and_b32_e32 v55, 0xffff, v59
	v_cvt_pkrtz_f16_f32 v53, v56, v57
	v_cvt_pk_f32_fp8_e32 v[56:57], v55
	v_lshrrev_b32_e32 v55, 16, v59
	v_cvt_pkrtz_f16_f32 v51, v0, v1
	v_lshrrev_b32_e32 v0, 16, v58
	v_cvt_pk_f32_fp8_e32 v[58:59], v55
	v_and_b32_e32 v55, 0xffff, v60
	v_cvt_pkrtz_f16_f32 v54, v62, v63
	v_cvt_pk_f32_fp8_e32 v[62:63], v55
	v_cvt_pk_f32_fp8_e32 v[0:1], v0
	v_cvt_pkrtz_f16_f32 v56, v56, v57
	v_cvt_pkrtz_f16_f32 v57, v58, v59
	v_and_b32_e32 v59, 0xffff, v61
	v_cvt_pkrtz_f16_f32 v58, v62, v63
	v_cvt_pk_f32_fp8_e32 v[62:63], v59
	v_lshrrev_b32_e32 v59, 16, v61
	v_cvt_pkrtz_f16_f32 v55, v0, v1
	v_lshrrev_b32_e32 v0, 16, v60
	v_cvt_pk_f32_fp8_e32 v[64:65], v59
	v_cvt_pk_f32_fp8_e32 v[0:1], v0
	s_waitcnt lgkmcnt(1)
	v_and_b32_e32 v59, 0xffff, v70
	v_cvt_pk_f32_fp8_e32 v[78:79], v59
	v_cvt_pkrtz_f16_f32 v60, v62, v63
	v_and_b32_e32 v63, 0xffff, v71
	v_cvt_pkrtz_f16_f32 v61, v64, v65
	v_cvt_pk_f32_fp8_e32 v[64:65], v63
	v_lshrrev_b32_e32 v63, 16, v71
	v_cvt_pkrtz_f16_f32 v59, v0, v1
	v_lshrrev_b32_e32 v0, 16, v70
	v_cvt_pk_f32_fp8_e32 v[70:71], v63
	v_and_b32_e32 v63, 0xffff, v72
	v_cvt_pkrtz_f16_f32 v62, v78, v79
	v_cvt_pk_f32_fp8_e32 v[0:1], v0
	v_cvt_pk_f32_fp8_e32 v[78:79], v63
	v_cvt_pkrtz_f16_f32 v64, v64, v65
	v_cvt_pkrtz_f16_f32 v65, v70, v71
	;; [unrolled: 1-line block ×4, first 2 shown]
	v_lshrrev_b32_e32 v0, 16, v72
	ds_read_b128 v[78:81], v176 offset:16384
	v_cvt_pk_f32_fp8_e32 v[0:1], v0
	v_and_b32_e32 v71, 0xffff, v73
	v_cvt_pk_f32_fp8_e32 v[82:83], v71
	v_lshrrev_b32_e32 v71, 16, v73
	v_cvt_pk_f32_fp8_e32 v[84:85], v71
	v_cvt_pkrtz_f16_f32 v71, v0, v1
	s_waitcnt lgkmcnt(0)
	v_and_b32_e32 v0, 0xffff, v78
	v_lshrrev_b32_e32 v78, 16, v78
	v_cvt_pk_f32_fp8_e32 v[88:89], v78
	v_and_b32_e32 v78, 0xffff, v79
	v_cvt_pk_f32_fp8_e32 v[90:91], v78
	v_lshrrev_b32_e32 v78, 16, v79
	v_cvt_pk_f32_fp8_e32 v[78:79], v78
	v_cvt_pkrtz_f16_f32 v87, v88, v89
	v_cvt_pkrtz_f16_f32 v72, v82, v83
	;; [unrolled: 1-line block ×4, first 2 shown]
	v_lshrrev_b32_e32 v78, 16, v80
	v_cvt_pk_f32_fp8_e32 v[96:97], v78
	v_and_b32_e32 v78, 0xffff, v81
	v_cvt_pk_f32_fp8_e32 v[98:99], v78
	v_lshrrev_b32_e32 v78, 16, v81
	ds_read_b128 v[82:85], v176 offset:20480
	v_cvt_pk_f32_fp8_e32 v[100:101], v78
	scratch_load_dword v78, off, off offset:160 ; 4-byte Folded Reload
	s_waitcnt vmcnt(1)
	ds_read_b128 v[26:29], v6
	scratch_load_dword v6, off, off offset:168 ; 4-byte Folded Reload
	v_cvt_pk_f32_fp8_e32 v[0:1], v0
	v_cvt_pkrtz_f16_f32 v88, v90, v91
	v_cvt_pkrtz_f16_f32 v95, v96, v97
	;; [unrolled: 1-line block ×4, first 2 shown]
	v_and_b32_e32 v0, 0xffff, v80
	v_cvt_pk_f32_fp8_e32 v[0:1], v0
	v_cvt_pkrtz_f16_f32 v96, v98, v99
	ds_read_b128 v[66:69], v186 offset:20480
	v_cvt_pkrtz_f16_f32 v94, v0, v1
	s_waitcnt vmcnt(0)
	ds_read_b128 v[22:25], v6
	scratch_load_dword v6, off, off offset:172 ; 4-byte Folded Reload
	s_waitcnt vmcnt(0)
	ds_read_b128 v[18:21], v6
	scratch_load_dword v6, off, off offset:176 ; 4-byte Folded Reload
	s_waitcnt vmcnt(0)
	ds_read_b128 v[6:9], v6
	ds_read_b128 v[78:81], v78
	ds_read_b128 v[90:93], v210 offset:20480
	scratch_load_dword v118, off, off offset:136 ; 4-byte Folded Reload
	scratch_load_dword v122, off, off offset:140 ; 4-byte Folded Reload
	;; [unrolled: 1-line block ×6, first 2 shown]
	s_waitcnt lgkmcnt(0)
	v_and_b32_e32 v0, 0xffff, v90
	v_lshrrev_b32_e32 v90, 16, v90
	v_cvt_pk_f32_fp8_e32 v[100:101], v90
	v_and_b32_e32 v90, 0xffff, v91
	v_cvt_pk_f32_fp8_e32 v[102:103], v90
	v_lshrrev_b32_e32 v90, 16, v91
	v_cvt_pk_f32_fp8_e32 v[0:1], v0
	v_cvt_pk_f32_fp8_e32 v[90:91], v90
	v_cvt_pkrtz_f16_f32 v99, v100, v101
	v_cvt_pkrtz_f16_f32 v100, v102, v103
	;; [unrolled: 1-line block ×4, first 2 shown]
	v_and_b32_e32 v0, 0xffff, v92
	v_lshrrev_b32_e32 v90, 16, v92
	v_cvt_pk_f32_fp8_e32 v[0:1], v0
	v_cvt_pk_f32_fp8_e32 v[102:103], v90
	v_and_b32_e32 v90, 0xffff, v93
	v_cvt_pk_f32_fp8_e32 v[104:105], v90
	v_lshrrev_b32_e32 v90, 16, v93
	v_cvt_pk_f32_fp8_e32 v[106:107], v90
	v_cvt_pkrtz_f16_f32 v90, v0, v1
	v_and_b32_e32 v0, 0xffff, v66
	v_lshrrev_b32_e32 v66, 16, v66
	v_cvt_pkrtz_f16_f32 v92, v104, v105
	v_cvt_pk_f32_fp8_e32 v[104:105], v66
	v_and_b32_e32 v66, 0xffff, v67
	v_cvt_pkrtz_f16_f32 v93, v106, v107
	v_cvt_pk_f32_fp8_e32 v[106:107], v66
	v_lshrrev_b32_e32 v66, 16, v67
	v_cvt_pk_f32_fp8_e32 v[0:1], v0
	v_cvt_pk_f32_fp8_e32 v[66:67], v66
	v_cvt_pkrtz_f16_f32 v91, v102, v103
	v_cvt_pkrtz_f16_f32 v103, v104, v105
	;; [unrolled: 1-line block ×4, first 2 shown]
	v_and_b32_e32 v0, 0xffff, v68
	v_lshrrev_b32_e32 v66, 16, v68
	v_cvt_pkrtz_f16_f32 v104, v106, v107
	v_cvt_pk_f32_fp8_e32 v[0:1], v0
	v_cvt_pk_f32_fp8_e32 v[106:107], v66
	v_and_b32_e32 v66, 0xffff, v69
	v_cvt_pk_f32_fp8_e32 v[108:109], v66
	v_lshrrev_b32_e32 v66, 16, v69
	v_cvt_pk_f32_fp8_e32 v[110:111], v66
	v_cvt_pkrtz_f16_f32 v66, v0, v1
	v_and_b32_e32 v0, 0xffff, v74
	v_lshrrev_b32_e32 v74, 16, v74
	v_cvt_pkrtz_f16_f32 v68, v108, v109
	v_cvt_pk_f32_fp8_e32 v[108:109], v74
	v_and_b32_e32 v74, 0xffff, v75
	v_cvt_pkrtz_f16_f32 v69, v110, v111
	v_cvt_pk_f32_fp8_e32 v[110:111], v74
	v_lshrrev_b32_e32 v74, 16, v75
	v_cvt_pk_f32_fp8_e32 v[0:1], v0
	v_cvt_pk_f32_fp8_e32 v[74:75], v74
	v_cvt_pkrtz_f16_f32 v67, v106, v107
	v_cvt_pkrtz_f16_f32 v107, v108, v109
	;; [unrolled: 1-line block ×4, first 2 shown]
	v_and_b32_e32 v0, 0xffff, v76
	v_lshrrev_b32_e32 v74, 16, v76
	v_cvt_pkrtz_f16_f32 v108, v110, v111
	v_cvt_pk_f32_fp8_e32 v[0:1], v0
	v_cvt_pk_f32_fp8_e32 v[110:111], v74
	v_and_b32_e32 v74, 0xffff, v77
	v_cvt_pk_f32_fp8_e32 v[112:113], v74
	v_lshrrev_b32_e32 v74, 16, v77
	v_cvt_pk_f32_fp8_e32 v[114:115], v74
	v_cvt_pkrtz_f16_f32 v74, v0, v1
	v_and_b32_e32 v0, 0xffff, v82
	v_lshrrev_b32_e32 v82, 16, v82
	v_cvt_pkrtz_f16_f32 v76, v112, v113
	v_cvt_pk_f32_fp8_e32 v[112:113], v82
	v_and_b32_e32 v82, 0xffff, v83
	v_cvt_pkrtz_f16_f32 v77, v114, v115
	v_cvt_pk_f32_fp8_e32 v[114:115], v82
	v_lshrrev_b32_e32 v82, 16, v83
	v_cvt_pk_f32_fp8_e32 v[82:83], v82
	v_cvt_pkrtz_f16_f32 v75, v110, v111
	v_cvt_pkrtz_f16_f32 v111, v112, v113
	;; [unrolled: 1-line block ×4, first 2 shown]
	v_lshrrev_b32_e32 v82, 16, v84
	v_cvt_pk_f32_fp8_e32 v[144:145], v82
	v_and_b32_e32 v82, 0xffff, v85
	v_cvt_pk_f32_fp8_e32 v[146:147], v82
	v_lshrrev_b32_e32 v82, 16, v85
	v_cvt_pk_f32_fp8_e32 v[148:149], v82
	scratch_load_dword v82, off, off offset:128 ; 4-byte Folded Reload
	scratch_load_dword v114, off, off offset:132 ; 4-byte Folded Reload
	v_cvt_pk_f32_fp8_e32 v[0:1], v0
	v_cvt_pkrtz_f16_f32 v143, v144, v145
	v_cvt_pkrtz_f16_f32 v144, v146, v147
	;; [unrolled: 1-line block ×4, first 2 shown]
	v_and_b32_e32 v0, 0xffff, v84
	v_cvt_pk_f32_fp8_e32 v[0:1], v0
	s_waitcnt vmcnt(7)
	ds_read_b128 v[118:121], v118 offset:8192
	s_waitcnt vmcnt(6)
	ds_read_b128 v[122:125], v122 offset:8192
	;; [unrolled: 2-line block ×6, first 2 shown]
	v_cvt_pkrtz_f16_f32 v142, v0, v1
	s_waitcnt vmcnt(1)
	ds_read_b128 v[82:85], v82 offset:8192
	s_waitcnt vmcnt(0)
	ds_read_b128 v[114:117], v114 offset:8192
	; sched_barrier mask(0x00000000)
	; wave barrier
	; sched_barrier mask(0x00000000)
	v_mfma_f32_16x16x32_f16 v[14:17], v[38:41], v[42:45], v[14:17]
	v_mfma_f32_16x16x32_f16 v[14:17], v[78:81], v[50:53], v[14:17]
	; sched_barrier mask(0x00000000)
	s_setprio 1
	; sched_barrier mask(0x00000000)
	v_mfma_f32_16x16x32_f16 v[10:13], v[38:41], v[98:101], v[10:13]
	v_mfma_f32_16x16x32_f16 v[10:13], v[78:81], v[90:93], v[10:13]
	s_waitcnt lgkmcnt(1)
	v_mfma_f32_16x16x32_f16 v[38:41], v[82:85], v[42:45], v[46:49]
	s_waitcnt lgkmcnt(0)
	v_mfma_f32_16x16x32_f16 v[38:41], v[114:117], v[50:53], v[38:41]
	v_mfma_f32_16x16x32_f16 v[14:17], v[34:37], v[54:57], v[14:17]
	;; [unrolled: 1-line block ×25, first 2 shown]
	; sched_barrier mask(0x00000000)
	s_waitcnt lgkmcnt(0)
	; wave barrier
	; sched_barrier mask(0x00000000)
	v_mfma_f32_16x16x32_f16 v[0:3], v[134:137], v[110:113], v[0:3]
	v_mfma_f32_16x16x32_f16 v[0:3], v[138:141], v[142:145], v[0:3]
	; sched_barrier mask(0x00000000)
	s_setprio 0
	; sched_barrier mask(0x00000000)
	scratch_load_dword v12, off, off offset:228 ; 4-byte Folded Reload
	v_cvt_f16_f32_e32 v14, v14
	v_cvt_f16_f32_e32 v15, v15
	;; [unrolled: 1-line block ×4, first 2 shown]
	s_add_i32 s3, s5, s3
	v_cvt_f16_f32_e32 v4, v4
	s_lshl_b32 s14, s3, 1
	s_and_b32 s13, s2, 0xffff
	v_cvt_f16_f32_e32 v5, v5
	v_cvt_f16_f32_e32 v6, v6
	s_mov_b32 s15, 0x20000
	v_cvt_f16_f32_e32 v7, v7
	v_cvt_f16_f32_e32 v0, v0
	;; [unrolled: 1-line block ×5, first 2 shown]
	s_waitcnt vmcnt(0)
	v_lshrrev_b32_e32 v13, 2, v12
	scratch_load_dword v12, off, off offset:240 ; 4-byte Folded Reload
	v_lshl_or_b32 v21, s11, 5, v13
	s_waitcnt lgkmcnt(0)
	; wave barrier
	scratch_load_dword v22, off, off offset:236 ; 4-byte Folded Reload
	s_waitcnt vmcnt(1)
	v_and_b32_e32 v20, 12, v12
	v_or_b32_e32 v12, s6, v20
	v_mad_u64_u32 v[18:19], s[0:1], v21, s9, v[12:13]
	scratch_load_dword v19, off, off offset:232 ; 4-byte Folded Reload
	v_cmp_gt_i32_e32 vcc, s5, v12
	v_cmp_gt_i32_e64 s[0:1], s4, v21
	s_and_b64 s[2:3], s[0:1], vcc
	v_or_b32_e32 v12, 16, v12
	s_waitcnt vmcnt(0)
	v_lshlrev_b32_e32 v19, 1, v19
	v_lshl_add_u32 v19, v22, 1, v19
	ds_write_b16 v19, v14
	ds_write_b16 v19, v15 offset:32
	ds_write_b16 v19, v16 offset:64
	;; [unrolled: 1-line block ×3, first 2 shown]
	v_lshlrev_b32_e32 v14, 1, v20
	v_lshl_or_b32 v13, v13, 5, v14
	s_waitcnt lgkmcnt(0)
	; wave barrier
	ds_read_b64 v[14:15], v13
	v_bfrev_b32_e32 v16, 1
	v_cndmask_b32_e64 v17, v16, 0, s[2:3]
	v_lshl_add_u32 v17, v18, 1, v17
	v_cmp_gt_i32_e64 s[2:3], s5, v12
	s_waitcnt lgkmcnt(0)
	buffer_store_dwordx2 v[14:15], v17, s[12:15], 0 offen
	s_waitcnt lgkmcnt(0)
	; wave barrier
	ds_write_b16 v19, v4
	ds_write_b16 v19, v5 offset:32
	ds_write_b16 v19, v6 offset:64
	;; [unrolled: 1-line block ×3, first 2 shown]
	s_waitcnt lgkmcnt(0)
	; wave barrier
	ds_read_b64 v[4:5], v13
	s_and_b64 s[0:1], s[0:1], s[2:3]
	v_add_u32_e32 v14, 16, v18
	v_cndmask_b32_e64 v6, v16, 0, s[0:1]
	v_lshl_add_u32 v6, v14, 1, v6
	s_waitcnt lgkmcnt(0)
	buffer_store_dwordx2 v[4:5], v6, s[12:15], 0 offen
	v_or_b32_e32 v4, 16, v21
	s_waitcnt lgkmcnt(0)
	; wave barrier
	ds_write_b16 v19, v0
	ds_write_b16 v19, v1 offset:32
	ds_write_b16 v19, v2 offset:64
	;; [unrolled: 1-line block ×3, first 2 shown]
	s_waitcnt lgkmcnt(0)
	; wave barrier
	ds_read_b64 v[0:1], v13
	v_cmp_gt_i32_e64 s[0:1], s4, v4
	s_lshl_b32 s5, s9, 4
	s_and_b64 s[2:3], s[0:1], s[2:3]
	v_add_u32_e32 v5, s5, v14
	v_cndmask_b32_e64 v2, v16, 0, s[2:3]
	v_lshl_add_u32 v2, v5, 1, v2
	s_waitcnt lgkmcnt(0)
	buffer_store_dwordx2 v[0:1], v2, s[12:15], 0 offen
	v_cvt_f16_f32_e32 v0, v8
	v_cvt_f16_f32_e32 v1, v9
	;; [unrolled: 1-line block ×4, first 2 shown]
	s_waitcnt lgkmcnt(0)
	; wave barrier
	ds_write_b16 v19, v0
	ds_write_b16 v19, v1 offset:32
	ds_write_b16 v19, v2 offset:64
	ds_write_b16 v19, v3 offset:96
	s_waitcnt lgkmcnt(0)
	; wave barrier
	ds_read_b64 v[0:1], v13
	s_and_b64 s[0:1], vcc, s[0:1]
	v_add_u32_e32 v2, s5, v18
	v_cndmask_b32_e64 v3, v16, 0, s[0:1]
	v_lshl_add_u32 v2, v2, 1, v3
	s_waitcnt lgkmcnt(0)
	buffer_store_dwordx2 v[0:1], v2, s[12:15], 0 offen
	s_endpgm
	.section	.rodata,"a",@progbits
	.p2align	6, 0x0
	.amdhsa_kernel _ZN2ck27kernel_gemm_xdl_cshuffle_v3INS_28GridwiseGemm_xdl_cshuffle_v3INS_13tensor_layout4gemm8RowMajorENS3_11ColumnMajorES4_DF16_NS_9f8_fnuz_tEfDF16_DF16_NS_16tensor_operation12element_wise11PassThroughES9_S9_LNS7_6device18GemmSpecializationE0ELi64ELi32ELi32ELi256ELi8ELi16ELi16ELi16ELi2ELi2ENS_8SequenceIJLi32ELi2ELi1EEEENSC_IJLi1ELi0ELi2EEEESE_Li2ELi8ELi8ELb0ELi0ENSC_IJLi16ELi4ELi1EEEESE_SE_Li2ELi16ELi16ELb0ELi0ELi1ELi1ENSC_IJLi1ELi16ELi1ELi4EEEELi4ELNS_26BlockGemmPipelineSchedulerE1ELNS_24BlockGemmPipelineVersionE0EDF16_DF16_Lb0ELb0ELb0ELi0ELb0EEELb1ELNS_25InMemoryDataOperationEnumE0ELi2ELNS_10TailNumberE10EEEvNT_8ArgumentE
		.amdhsa_group_segment_fixed_size 24576
		.amdhsa_private_segment_fixed_size 248
		.amdhsa_kernarg_size 112
		.amdhsa_user_sgpr_count 2
		.amdhsa_user_sgpr_dispatch_ptr 0
		.amdhsa_user_sgpr_queue_ptr 0
		.amdhsa_user_sgpr_kernarg_segment_ptr 1
		.amdhsa_user_sgpr_dispatch_id 0
		.amdhsa_user_sgpr_kernarg_preload_length 0
		.amdhsa_user_sgpr_kernarg_preload_offset 0
		.amdhsa_user_sgpr_private_segment_size 0
		.amdhsa_uses_dynamic_stack 0
		.amdhsa_enable_private_segment 1
		.amdhsa_system_sgpr_workgroup_id_x 1
		.amdhsa_system_sgpr_workgroup_id_y 0
		.amdhsa_system_sgpr_workgroup_id_z 1
		.amdhsa_system_sgpr_workgroup_info 0
		.amdhsa_system_vgpr_workitem_id 0
		.amdhsa_next_free_vgpr 256
		.amdhsa_next_free_sgpr 96
		.amdhsa_accum_offset 256
		.amdhsa_reserve_vcc 1
		.amdhsa_float_round_mode_32 0
		.amdhsa_float_round_mode_16_64 0
		.amdhsa_float_denorm_mode_32 3
		.amdhsa_float_denorm_mode_16_64 3
		.amdhsa_dx10_clamp 1
		.amdhsa_ieee_mode 1
		.amdhsa_fp16_overflow 0
		.amdhsa_tg_split 0
		.amdhsa_exception_fp_ieee_invalid_op 0
		.amdhsa_exception_fp_denorm_src 0
		.amdhsa_exception_fp_ieee_div_zero 0
		.amdhsa_exception_fp_ieee_overflow 0
		.amdhsa_exception_fp_ieee_underflow 0
		.amdhsa_exception_fp_ieee_inexact 0
		.amdhsa_exception_int_div_zero 0
	.end_amdhsa_kernel
	.section	.text._ZN2ck27kernel_gemm_xdl_cshuffle_v3INS_28GridwiseGemm_xdl_cshuffle_v3INS_13tensor_layout4gemm8RowMajorENS3_11ColumnMajorES4_DF16_NS_9f8_fnuz_tEfDF16_DF16_NS_16tensor_operation12element_wise11PassThroughES9_S9_LNS7_6device18GemmSpecializationE0ELi64ELi32ELi32ELi256ELi8ELi16ELi16ELi16ELi2ELi2ENS_8SequenceIJLi32ELi2ELi1EEEENSC_IJLi1ELi0ELi2EEEESE_Li2ELi8ELi8ELb0ELi0ENSC_IJLi16ELi4ELi1EEEESE_SE_Li2ELi16ELi16ELb0ELi0ELi1ELi1ENSC_IJLi1ELi16ELi1ELi4EEEELi4ELNS_26BlockGemmPipelineSchedulerE1ELNS_24BlockGemmPipelineVersionE0EDF16_DF16_Lb0ELb0ELb0ELi0ELb0EEELb1ELNS_25InMemoryDataOperationEnumE0ELi2ELNS_10TailNumberE10EEEvNT_8ArgumentE,"axG",@progbits,_ZN2ck27kernel_gemm_xdl_cshuffle_v3INS_28GridwiseGemm_xdl_cshuffle_v3INS_13tensor_layout4gemm8RowMajorENS3_11ColumnMajorES4_DF16_NS_9f8_fnuz_tEfDF16_DF16_NS_16tensor_operation12element_wise11PassThroughES9_S9_LNS7_6device18GemmSpecializationE0ELi64ELi32ELi32ELi256ELi8ELi16ELi16ELi16ELi2ELi2ENS_8SequenceIJLi32ELi2ELi1EEEENSC_IJLi1ELi0ELi2EEEESE_Li2ELi8ELi8ELb0ELi0ENSC_IJLi16ELi4ELi1EEEESE_SE_Li2ELi16ELi16ELb0ELi0ELi1ELi1ENSC_IJLi1ELi16ELi1ELi4EEEELi4ELNS_26BlockGemmPipelineSchedulerE1ELNS_24BlockGemmPipelineVersionE0EDF16_DF16_Lb0ELb0ELb0ELi0ELb0EEELb1ELNS_25InMemoryDataOperationEnumE0ELi2ELNS_10TailNumberE10EEEvNT_8ArgumentE,comdat
.Lfunc_end2:
	.size	_ZN2ck27kernel_gemm_xdl_cshuffle_v3INS_28GridwiseGemm_xdl_cshuffle_v3INS_13tensor_layout4gemm8RowMajorENS3_11ColumnMajorES4_DF16_NS_9f8_fnuz_tEfDF16_DF16_NS_16tensor_operation12element_wise11PassThroughES9_S9_LNS7_6device18GemmSpecializationE0ELi64ELi32ELi32ELi256ELi8ELi16ELi16ELi16ELi2ELi2ENS_8SequenceIJLi32ELi2ELi1EEEENSC_IJLi1ELi0ELi2EEEESE_Li2ELi8ELi8ELb0ELi0ENSC_IJLi16ELi4ELi1EEEESE_SE_Li2ELi16ELi16ELb0ELi0ELi1ELi1ENSC_IJLi1ELi16ELi1ELi4EEEELi4ELNS_26BlockGemmPipelineSchedulerE1ELNS_24BlockGemmPipelineVersionE0EDF16_DF16_Lb0ELb0ELb0ELi0ELb0EEELb1ELNS_25InMemoryDataOperationEnumE0ELi2ELNS_10TailNumberE10EEEvNT_8ArgumentE, .Lfunc_end2-_ZN2ck27kernel_gemm_xdl_cshuffle_v3INS_28GridwiseGemm_xdl_cshuffle_v3INS_13tensor_layout4gemm8RowMajorENS3_11ColumnMajorES4_DF16_NS_9f8_fnuz_tEfDF16_DF16_NS_16tensor_operation12element_wise11PassThroughES9_S9_LNS7_6device18GemmSpecializationE0ELi64ELi32ELi32ELi256ELi8ELi16ELi16ELi16ELi2ELi2ENS_8SequenceIJLi32ELi2ELi1EEEENSC_IJLi1ELi0ELi2EEEESE_Li2ELi8ELi8ELb0ELi0ENSC_IJLi16ELi4ELi1EEEESE_SE_Li2ELi16ELi16ELb0ELi0ELi1ELi1ENSC_IJLi1ELi16ELi1ELi4EEEELi4ELNS_26BlockGemmPipelineSchedulerE1ELNS_24BlockGemmPipelineVersionE0EDF16_DF16_Lb0ELb0ELb0ELi0ELb0EEELb1ELNS_25InMemoryDataOperationEnumE0ELi2ELNS_10TailNumberE10EEEvNT_8ArgumentE
                                        ; -- End function
	.set _ZN2ck27kernel_gemm_xdl_cshuffle_v3INS_28GridwiseGemm_xdl_cshuffle_v3INS_13tensor_layout4gemm8RowMajorENS3_11ColumnMajorES4_DF16_NS_9f8_fnuz_tEfDF16_DF16_NS_16tensor_operation12element_wise11PassThroughES9_S9_LNS7_6device18GemmSpecializationE0ELi64ELi32ELi32ELi256ELi8ELi16ELi16ELi16ELi2ELi2ENS_8SequenceIJLi32ELi2ELi1EEEENSC_IJLi1ELi0ELi2EEEESE_Li2ELi8ELi8ELb0ELi0ENSC_IJLi16ELi4ELi1EEEESE_SE_Li2ELi16ELi16ELb0ELi0ELi1ELi1ENSC_IJLi1ELi16ELi1ELi4EEEELi4ELNS_26BlockGemmPipelineSchedulerE1ELNS_24BlockGemmPipelineVersionE0EDF16_DF16_Lb0ELb0ELb0ELi0ELb0EEELb1ELNS_25InMemoryDataOperationEnumE0ELi2ELNS_10TailNumberE10EEEvNT_8ArgumentE.num_vgpr, 256
	.set _ZN2ck27kernel_gemm_xdl_cshuffle_v3INS_28GridwiseGemm_xdl_cshuffle_v3INS_13tensor_layout4gemm8RowMajorENS3_11ColumnMajorES4_DF16_NS_9f8_fnuz_tEfDF16_DF16_NS_16tensor_operation12element_wise11PassThroughES9_S9_LNS7_6device18GemmSpecializationE0ELi64ELi32ELi32ELi256ELi8ELi16ELi16ELi16ELi2ELi2ENS_8SequenceIJLi32ELi2ELi1EEEENSC_IJLi1ELi0ELi2EEEESE_Li2ELi8ELi8ELb0ELi0ENSC_IJLi16ELi4ELi1EEEESE_SE_Li2ELi16ELi16ELb0ELi0ELi1ELi1ENSC_IJLi1ELi16ELi1ELi4EEEELi4ELNS_26BlockGemmPipelineSchedulerE1ELNS_24BlockGemmPipelineVersionE0EDF16_DF16_Lb0ELb0ELb0ELi0ELb0EEELb1ELNS_25InMemoryDataOperationEnumE0ELi2ELNS_10TailNumberE10EEEvNT_8ArgumentE.num_agpr, 0
	.set _ZN2ck27kernel_gemm_xdl_cshuffle_v3INS_28GridwiseGemm_xdl_cshuffle_v3INS_13tensor_layout4gemm8RowMajorENS3_11ColumnMajorES4_DF16_NS_9f8_fnuz_tEfDF16_DF16_NS_16tensor_operation12element_wise11PassThroughES9_S9_LNS7_6device18GemmSpecializationE0ELi64ELi32ELi32ELi256ELi8ELi16ELi16ELi16ELi2ELi2ENS_8SequenceIJLi32ELi2ELi1EEEENSC_IJLi1ELi0ELi2EEEESE_Li2ELi8ELi8ELb0ELi0ENSC_IJLi16ELi4ELi1EEEESE_SE_Li2ELi16ELi16ELb0ELi0ELi1ELi1ENSC_IJLi1ELi16ELi1ELi4EEEELi4ELNS_26BlockGemmPipelineSchedulerE1ELNS_24BlockGemmPipelineVersionE0EDF16_DF16_Lb0ELb0ELb0ELi0ELb0EEELb1ELNS_25InMemoryDataOperationEnumE0ELi2ELNS_10TailNumberE10EEEvNT_8ArgumentE.numbered_sgpr, 29
	.set _ZN2ck27kernel_gemm_xdl_cshuffle_v3INS_28GridwiseGemm_xdl_cshuffle_v3INS_13tensor_layout4gemm8RowMajorENS3_11ColumnMajorES4_DF16_NS_9f8_fnuz_tEfDF16_DF16_NS_16tensor_operation12element_wise11PassThroughES9_S9_LNS7_6device18GemmSpecializationE0ELi64ELi32ELi32ELi256ELi8ELi16ELi16ELi16ELi2ELi2ENS_8SequenceIJLi32ELi2ELi1EEEENSC_IJLi1ELi0ELi2EEEESE_Li2ELi8ELi8ELb0ELi0ENSC_IJLi16ELi4ELi1EEEESE_SE_Li2ELi16ELi16ELb0ELi0ELi1ELi1ENSC_IJLi1ELi16ELi1ELi4EEEELi4ELNS_26BlockGemmPipelineSchedulerE1ELNS_24BlockGemmPipelineVersionE0EDF16_DF16_Lb0ELb0ELb0ELi0ELb0EEELb1ELNS_25InMemoryDataOperationEnumE0ELi2ELNS_10TailNumberE10EEEvNT_8ArgumentE.num_named_barrier, 0
	.set _ZN2ck27kernel_gemm_xdl_cshuffle_v3INS_28GridwiseGemm_xdl_cshuffle_v3INS_13tensor_layout4gemm8RowMajorENS3_11ColumnMajorES4_DF16_NS_9f8_fnuz_tEfDF16_DF16_NS_16tensor_operation12element_wise11PassThroughES9_S9_LNS7_6device18GemmSpecializationE0ELi64ELi32ELi32ELi256ELi8ELi16ELi16ELi16ELi2ELi2ENS_8SequenceIJLi32ELi2ELi1EEEENSC_IJLi1ELi0ELi2EEEESE_Li2ELi8ELi8ELb0ELi0ENSC_IJLi16ELi4ELi1EEEESE_SE_Li2ELi16ELi16ELb0ELi0ELi1ELi1ENSC_IJLi1ELi16ELi1ELi4EEEELi4ELNS_26BlockGemmPipelineSchedulerE1ELNS_24BlockGemmPipelineVersionE0EDF16_DF16_Lb0ELb0ELb0ELi0ELb0EEELb1ELNS_25InMemoryDataOperationEnumE0ELi2ELNS_10TailNumberE10EEEvNT_8ArgumentE.private_seg_size, 248
	.set _ZN2ck27kernel_gemm_xdl_cshuffle_v3INS_28GridwiseGemm_xdl_cshuffle_v3INS_13tensor_layout4gemm8RowMajorENS3_11ColumnMajorES4_DF16_NS_9f8_fnuz_tEfDF16_DF16_NS_16tensor_operation12element_wise11PassThroughES9_S9_LNS7_6device18GemmSpecializationE0ELi64ELi32ELi32ELi256ELi8ELi16ELi16ELi16ELi2ELi2ENS_8SequenceIJLi32ELi2ELi1EEEENSC_IJLi1ELi0ELi2EEEESE_Li2ELi8ELi8ELb0ELi0ENSC_IJLi16ELi4ELi1EEEESE_SE_Li2ELi16ELi16ELb0ELi0ELi1ELi1ENSC_IJLi1ELi16ELi1ELi4EEEELi4ELNS_26BlockGemmPipelineSchedulerE1ELNS_24BlockGemmPipelineVersionE0EDF16_DF16_Lb0ELb0ELb0ELi0ELb0EEELb1ELNS_25InMemoryDataOperationEnumE0ELi2ELNS_10TailNumberE10EEEvNT_8ArgumentE.uses_vcc, 1
	.set _ZN2ck27kernel_gemm_xdl_cshuffle_v3INS_28GridwiseGemm_xdl_cshuffle_v3INS_13tensor_layout4gemm8RowMajorENS3_11ColumnMajorES4_DF16_NS_9f8_fnuz_tEfDF16_DF16_NS_16tensor_operation12element_wise11PassThroughES9_S9_LNS7_6device18GemmSpecializationE0ELi64ELi32ELi32ELi256ELi8ELi16ELi16ELi16ELi2ELi2ENS_8SequenceIJLi32ELi2ELi1EEEENSC_IJLi1ELi0ELi2EEEESE_Li2ELi8ELi8ELb0ELi0ENSC_IJLi16ELi4ELi1EEEESE_SE_Li2ELi16ELi16ELb0ELi0ELi1ELi1ENSC_IJLi1ELi16ELi1ELi4EEEELi4ELNS_26BlockGemmPipelineSchedulerE1ELNS_24BlockGemmPipelineVersionE0EDF16_DF16_Lb0ELb0ELb0ELi0ELb0EEELb1ELNS_25InMemoryDataOperationEnumE0ELi2ELNS_10TailNumberE10EEEvNT_8ArgumentE.uses_flat_scratch, 0
	.set _ZN2ck27kernel_gemm_xdl_cshuffle_v3INS_28GridwiseGemm_xdl_cshuffle_v3INS_13tensor_layout4gemm8RowMajorENS3_11ColumnMajorES4_DF16_NS_9f8_fnuz_tEfDF16_DF16_NS_16tensor_operation12element_wise11PassThroughES9_S9_LNS7_6device18GemmSpecializationE0ELi64ELi32ELi32ELi256ELi8ELi16ELi16ELi16ELi2ELi2ENS_8SequenceIJLi32ELi2ELi1EEEENSC_IJLi1ELi0ELi2EEEESE_Li2ELi8ELi8ELb0ELi0ENSC_IJLi16ELi4ELi1EEEESE_SE_Li2ELi16ELi16ELb0ELi0ELi1ELi1ENSC_IJLi1ELi16ELi1ELi4EEEELi4ELNS_26BlockGemmPipelineSchedulerE1ELNS_24BlockGemmPipelineVersionE0EDF16_DF16_Lb0ELb0ELb0ELi0ELb0EEELb1ELNS_25InMemoryDataOperationEnumE0ELi2ELNS_10TailNumberE10EEEvNT_8ArgumentE.has_dyn_sized_stack, 0
	.set _ZN2ck27kernel_gemm_xdl_cshuffle_v3INS_28GridwiseGemm_xdl_cshuffle_v3INS_13tensor_layout4gemm8RowMajorENS3_11ColumnMajorES4_DF16_NS_9f8_fnuz_tEfDF16_DF16_NS_16tensor_operation12element_wise11PassThroughES9_S9_LNS7_6device18GemmSpecializationE0ELi64ELi32ELi32ELi256ELi8ELi16ELi16ELi16ELi2ELi2ENS_8SequenceIJLi32ELi2ELi1EEEENSC_IJLi1ELi0ELi2EEEESE_Li2ELi8ELi8ELb0ELi0ENSC_IJLi16ELi4ELi1EEEESE_SE_Li2ELi16ELi16ELb0ELi0ELi1ELi1ENSC_IJLi1ELi16ELi1ELi4EEEELi4ELNS_26BlockGemmPipelineSchedulerE1ELNS_24BlockGemmPipelineVersionE0EDF16_DF16_Lb0ELb0ELb0ELi0ELb0EEELb1ELNS_25InMemoryDataOperationEnumE0ELi2ELNS_10TailNumberE10EEEvNT_8ArgumentE.has_recursion, 0
	.set _ZN2ck27kernel_gemm_xdl_cshuffle_v3INS_28GridwiseGemm_xdl_cshuffle_v3INS_13tensor_layout4gemm8RowMajorENS3_11ColumnMajorES4_DF16_NS_9f8_fnuz_tEfDF16_DF16_NS_16tensor_operation12element_wise11PassThroughES9_S9_LNS7_6device18GemmSpecializationE0ELi64ELi32ELi32ELi256ELi8ELi16ELi16ELi16ELi2ELi2ENS_8SequenceIJLi32ELi2ELi1EEEENSC_IJLi1ELi0ELi2EEEESE_Li2ELi8ELi8ELb0ELi0ENSC_IJLi16ELi4ELi1EEEESE_SE_Li2ELi16ELi16ELb0ELi0ELi1ELi1ENSC_IJLi1ELi16ELi1ELi4EEEELi4ELNS_26BlockGemmPipelineSchedulerE1ELNS_24BlockGemmPipelineVersionE0EDF16_DF16_Lb0ELb0ELb0ELi0ELb0EEELb1ELNS_25InMemoryDataOperationEnumE0ELi2ELNS_10TailNumberE10EEEvNT_8ArgumentE.has_indirect_call, 0
	.section	.AMDGPU.csdata,"",@progbits
; Kernel info:
; codeLenInByte = 8920
; TotalNumSgprs: 35
; NumVgprs: 256
; NumAgprs: 0
; TotalNumVgprs: 256
; ScratchSize: 248
; MemoryBound: 0
; FloatMode: 240
; IeeeMode: 1
; LDSByteSize: 24576 bytes/workgroup (compile time only)
; SGPRBlocks: 12
; VGPRBlocks: 31
; NumSGPRsForWavesPerEU: 102
; NumVGPRsForWavesPerEU: 256
; AccumOffset: 256
; Occupancy: 2
; WaveLimiterHint : 0
; COMPUTE_PGM_RSRC2:SCRATCH_EN: 1
; COMPUTE_PGM_RSRC2:USER_SGPR: 2
; COMPUTE_PGM_RSRC2:TRAP_HANDLER: 0
; COMPUTE_PGM_RSRC2:TGID_X_EN: 1
; COMPUTE_PGM_RSRC2:TGID_Y_EN: 0
; COMPUTE_PGM_RSRC2:TGID_Z_EN: 1
; COMPUTE_PGM_RSRC2:TIDIG_COMP_CNT: 0
; COMPUTE_PGM_RSRC3_GFX90A:ACCUM_OFFSET: 63
; COMPUTE_PGM_RSRC3_GFX90A:TG_SPLIT: 0
	.section	.text._ZN2ck27kernel_gemm_xdl_cshuffle_v3INS_28GridwiseGemm_xdl_cshuffle_v3INS_13tensor_layout4gemm8RowMajorENS3_11ColumnMajorES4_DF16_NS_9f8_fnuz_tEfDF16_DF16_NS_16tensor_operation12element_wise11PassThroughES9_S9_LNS7_6device18GemmSpecializationE0ELi64ELi32ELi32ELi256ELi8ELi16ELi16ELi16ELi2ELi2ENS_8SequenceIJLi32ELi2ELi1EEEENSC_IJLi1ELi0ELi2EEEESE_Li2ELi8ELi8ELb0ELi0ENSC_IJLi16ELi4ELi1EEEESE_SE_Li2ELi16ELi16ELb0ELi0ELi1ELi1ENSC_IJLi1ELi16ELi1ELi4EEEELi4ELNS_26BlockGemmPipelineSchedulerE1ELNS_24BlockGemmPipelineVersionE0EDF16_DF16_Lb0ELb0ELb0ELi0ELb0EEELb0ELNS_25InMemoryDataOperationEnumE1ELi2ELNS_10TailNumberE10EEEvNT_8ArgumentE,"axG",@progbits,_ZN2ck27kernel_gemm_xdl_cshuffle_v3INS_28GridwiseGemm_xdl_cshuffle_v3INS_13tensor_layout4gemm8RowMajorENS3_11ColumnMajorES4_DF16_NS_9f8_fnuz_tEfDF16_DF16_NS_16tensor_operation12element_wise11PassThroughES9_S9_LNS7_6device18GemmSpecializationE0ELi64ELi32ELi32ELi256ELi8ELi16ELi16ELi16ELi2ELi2ENS_8SequenceIJLi32ELi2ELi1EEEENSC_IJLi1ELi0ELi2EEEESE_Li2ELi8ELi8ELb0ELi0ENSC_IJLi16ELi4ELi1EEEESE_SE_Li2ELi16ELi16ELb0ELi0ELi1ELi1ENSC_IJLi1ELi16ELi1ELi4EEEELi4ELNS_26BlockGemmPipelineSchedulerE1ELNS_24BlockGemmPipelineVersionE0EDF16_DF16_Lb0ELb0ELb0ELi0ELb0EEELb0ELNS_25InMemoryDataOperationEnumE1ELi2ELNS_10TailNumberE10EEEvNT_8ArgumentE,comdat
	.protected	_ZN2ck27kernel_gemm_xdl_cshuffle_v3INS_28GridwiseGemm_xdl_cshuffle_v3INS_13tensor_layout4gemm8RowMajorENS3_11ColumnMajorES4_DF16_NS_9f8_fnuz_tEfDF16_DF16_NS_16tensor_operation12element_wise11PassThroughES9_S9_LNS7_6device18GemmSpecializationE0ELi64ELi32ELi32ELi256ELi8ELi16ELi16ELi16ELi2ELi2ENS_8SequenceIJLi32ELi2ELi1EEEENSC_IJLi1ELi0ELi2EEEESE_Li2ELi8ELi8ELb0ELi0ENSC_IJLi16ELi4ELi1EEEESE_SE_Li2ELi16ELi16ELb0ELi0ELi1ELi1ENSC_IJLi1ELi16ELi1ELi4EEEELi4ELNS_26BlockGemmPipelineSchedulerE1ELNS_24BlockGemmPipelineVersionE0EDF16_DF16_Lb0ELb0ELb0ELi0ELb0EEELb0ELNS_25InMemoryDataOperationEnumE1ELi2ELNS_10TailNumberE10EEEvNT_8ArgumentE ; -- Begin function _ZN2ck27kernel_gemm_xdl_cshuffle_v3INS_28GridwiseGemm_xdl_cshuffle_v3INS_13tensor_layout4gemm8RowMajorENS3_11ColumnMajorES4_DF16_NS_9f8_fnuz_tEfDF16_DF16_NS_16tensor_operation12element_wise11PassThroughES9_S9_LNS7_6device18GemmSpecializationE0ELi64ELi32ELi32ELi256ELi8ELi16ELi16ELi16ELi2ELi2ENS_8SequenceIJLi32ELi2ELi1EEEENSC_IJLi1ELi0ELi2EEEESE_Li2ELi8ELi8ELb0ELi0ENSC_IJLi16ELi4ELi1EEEESE_SE_Li2ELi16ELi16ELb0ELi0ELi1ELi1ENSC_IJLi1ELi16ELi1ELi4EEEELi4ELNS_26BlockGemmPipelineSchedulerE1ELNS_24BlockGemmPipelineVersionE0EDF16_DF16_Lb0ELb0ELb0ELi0ELb0EEELb0ELNS_25InMemoryDataOperationEnumE1ELi2ELNS_10TailNumberE10EEEvNT_8ArgumentE
	.globl	_ZN2ck27kernel_gemm_xdl_cshuffle_v3INS_28GridwiseGemm_xdl_cshuffle_v3INS_13tensor_layout4gemm8RowMajorENS3_11ColumnMajorES4_DF16_NS_9f8_fnuz_tEfDF16_DF16_NS_16tensor_operation12element_wise11PassThroughES9_S9_LNS7_6device18GemmSpecializationE0ELi64ELi32ELi32ELi256ELi8ELi16ELi16ELi16ELi2ELi2ENS_8SequenceIJLi32ELi2ELi1EEEENSC_IJLi1ELi0ELi2EEEESE_Li2ELi8ELi8ELb0ELi0ENSC_IJLi16ELi4ELi1EEEESE_SE_Li2ELi16ELi16ELb0ELi0ELi1ELi1ENSC_IJLi1ELi16ELi1ELi4EEEELi4ELNS_26BlockGemmPipelineSchedulerE1ELNS_24BlockGemmPipelineVersionE0EDF16_DF16_Lb0ELb0ELb0ELi0ELb0EEELb0ELNS_25InMemoryDataOperationEnumE1ELi2ELNS_10TailNumberE10EEEvNT_8ArgumentE
	.p2align	8
	.type	_ZN2ck27kernel_gemm_xdl_cshuffle_v3INS_28GridwiseGemm_xdl_cshuffle_v3INS_13tensor_layout4gemm8RowMajorENS3_11ColumnMajorES4_DF16_NS_9f8_fnuz_tEfDF16_DF16_NS_16tensor_operation12element_wise11PassThroughES9_S9_LNS7_6device18GemmSpecializationE0ELi64ELi32ELi32ELi256ELi8ELi16ELi16ELi16ELi2ELi2ENS_8SequenceIJLi32ELi2ELi1EEEENSC_IJLi1ELi0ELi2EEEESE_Li2ELi8ELi8ELb0ELi0ENSC_IJLi16ELi4ELi1EEEESE_SE_Li2ELi16ELi16ELb0ELi0ELi1ELi1ENSC_IJLi1ELi16ELi1ELi4EEEELi4ELNS_26BlockGemmPipelineSchedulerE1ELNS_24BlockGemmPipelineVersionE0EDF16_DF16_Lb0ELb0ELb0ELi0ELb0EEELb0ELNS_25InMemoryDataOperationEnumE1ELi2ELNS_10TailNumberE10EEEvNT_8ArgumentE,@function
_ZN2ck27kernel_gemm_xdl_cshuffle_v3INS_28GridwiseGemm_xdl_cshuffle_v3INS_13tensor_layout4gemm8RowMajorENS3_11ColumnMajorES4_DF16_NS_9f8_fnuz_tEfDF16_DF16_NS_16tensor_operation12element_wise11PassThroughES9_S9_LNS7_6device18GemmSpecializationE0ELi64ELi32ELi32ELi256ELi8ELi16ELi16ELi16ELi2ELi2ENS_8SequenceIJLi32ELi2ELi1EEEENSC_IJLi1ELi0ELi2EEEESE_Li2ELi8ELi8ELb0ELi0ENSC_IJLi16ELi4ELi1EEEESE_SE_Li2ELi16ELi16ELb0ELi0ELi1ELi1ENSC_IJLi1ELi16ELi1ELi4EEEELi4ELNS_26BlockGemmPipelineSchedulerE1ELNS_24BlockGemmPipelineVersionE0EDF16_DF16_Lb0ELb0ELb0ELi0ELb0EEELb0ELNS_25InMemoryDataOperationEnumE1ELi2ELNS_10TailNumberE10EEEvNT_8ArgumentE: ; @_ZN2ck27kernel_gemm_xdl_cshuffle_v3INS_28GridwiseGemm_xdl_cshuffle_v3INS_13tensor_layout4gemm8RowMajorENS3_11ColumnMajorES4_DF16_NS_9f8_fnuz_tEfDF16_DF16_NS_16tensor_operation12element_wise11PassThroughES9_S9_LNS7_6device18GemmSpecializationE0ELi64ELi32ELi32ELi256ELi8ELi16ELi16ELi16ELi2ELi2ENS_8SequenceIJLi32ELi2ELi1EEEENSC_IJLi1ELi0ELi2EEEESE_Li2ELi8ELi8ELb0ELi0ENSC_IJLi16ELi4ELi1EEEESE_SE_Li2ELi16ELi16ELb0ELi0ELi1ELi1ENSC_IJLi1ELi16ELi1ELi4EEEELi4ELNS_26BlockGemmPipelineSchedulerE1ELNS_24BlockGemmPipelineVersionE0EDF16_DF16_Lb0ELb0ELb0ELi0ELb0EEELb0ELNS_25InMemoryDataOperationEnumE1ELi2ELNS_10TailNumberE10EEEvNT_8ArgumentE
; %bb.0:
	s_load_dwordx8 s[4:11], s[0:1], 0x10
	s_waitcnt lgkmcnt(0)
	s_load_dword s11, s[0:1], 0x68
	s_load_dwordx2 s[12:13], s[0:1], 0x60
	s_load_dwordx4 s[16:19], s[0:1], 0x50
	s_cmp_gt_i32 s10, 1
	s_cselect_b64 s[14:15], -1, 0
	s_waitcnt lgkmcnt(0)
	s_bitcmp1_b32 s11, 0
	s_cselect_b64 s[20:21], -1, 0
	s_and_b64 s[14:15], s[14:15], s[20:21]
	s_andn2_b64 vcc, exec, s[14:15]
	s_mov_b64 s[14:15], 0
	s_cbranch_vccnz .LBB3_2
; %bb.1:
	s_mul_i32 s11, s4, s3
	s_mul_i32 s14, s11, s5
	s_ashr_i32 s15, s14, 31
.LBB3_2:
	s_load_dword s21, s[0:1], 0x34
	s_add_i32 s11, s4, -1
	s_cmp_lt_u32 s11, 32
	s_mov_b32 s1, 0
	s_cbranch_scc1 .LBB3_10
; %bb.3:
	s_add_i32 s0, s5, -1
	s_cmp_lt_u32 s0, 32
	s_mov_b32 s0, 0
	s_cbranch_scc1 .LBB3_9
; %bb.4:
	s_add_i32 s0, s4, 31
	s_ashr_i32 s1, s0, 31
	s_lshr_b32 s1, s1, 27
	s_add_i32 s0, s0, s1
	s_ashr_i32 s22, s0, 5
	s_add_i32 s0, s5, 31
	s_ashr_i32 s1, s0, 31
	s_lshr_b32 s1, s1, 27
	s_add_i32 s0, s0, s1
	s_ashr_i32 s20, s0, 5
	s_mul_i32 s0, s20, s22
	s_add_i32 s1, s0, 7
	s_ashr_i32 s23, s1, 31
	s_lshr_b32 s23, s23, 29
	s_add_i32 s1, s1, s23
	s_ashr_i32 s23, s1, 3
	s_and_b32 s1, s1, -8
	s_sub_i32 s24, s0, s1
	s_ashr_i32 s0, s2, 31
	s_lshr_b32 s0, s0, 29
	s_add_i32 s26, s2, s0
	s_and_b32 s0, s26, -8
	s_add_i32 s24, s24, 8
	s_sub_i32 s25, s2, s0
	s_cmp_gt_i32 s25, s24
	s_cbranch_scc1 .LBB3_6
; %bb.5:
	s_mul_i32 s2, s23, s25
	s_ashr_i32 s0, s26, 3
	s_cbranch_execz .LBB3_7
	s_branch .LBB3_8
.LBB3_6:
                                        ; implicit-def: $sgpr2
	s_ashr_i32 s0, s26, 3
.LBB3_7:
	s_add_i32 s1, s23, -1
	s_mul_i32 s1, s1, s25
	s_add_i32 s2, s24, s1
.LBB3_8:
	s_abs_i32 s1, s20
	v_cvt_f32_u32_e32 v1, s1
	s_sub_i32 s24, 0, s1
	s_add_i32 s0, s2, s0
	s_abs_i32 s23, s0
	v_rcp_iflag_f32_e32 v1, v1
	s_xor_b32 s2, s0, s20
	s_ashr_i32 s2, s2, 31
	v_mul_f32_e32 v1, 0x4f7ffffe, v1
	v_cvt_u32_f32_e32 v1, v1
	s_nop 0
	v_readfirstlane_b32 s25, v1
	s_mul_i32 s24, s24, s25
	s_mul_hi_u32 s24, s25, s24
	s_add_i32 s25, s25, s24
	s_mul_hi_u32 s24, s23, s25
	s_mul_i32 s25, s24, s1
	s_sub_i32 s23, s23, s25
	s_add_i32 s26, s24, 1
	s_sub_i32 s25, s23, s1
	s_cmp_ge_u32 s23, s1
	s_cselect_b32 s24, s26, s24
	s_cselect_b32 s23, s25, s23
	s_add_i32 s25, s24, 1
	s_cmp_ge_u32 s23, s1
	s_cselect_b32 s1, s25, s24
	s_xor_b32 s1, s1, s2
	s_lshr_b32 s23, s22, 30
	s_sub_i32 s1, s1, s2
	s_add_i32 s23, s22, s23
	s_mul_i32 s2, s1, s20
	s_sub_i32 s0, s0, s2
	s_and_b32 s2, s23, -4
	s_sub_i32 s22, s22, s2
	s_cmp_ge_i32 s1, s2
	s_cselect_b32 s2, s22, 4
	s_abs_i32 s23, s2
	v_cvt_f32_u32_e32 v1, s23
	s_ashr_i32 s22, s1, 31
	s_lshr_b32 s22, s22, 30
	s_add_i32 s22, s1, s22
	v_rcp_iflag_f32_e32 v1, v1
	s_and_b32 s22, s22, -4
	s_sub_i32 s22, s1, s22
	s_sub_i32 s25, 0, s23
	v_mul_f32_e32 v1, 0x4f7ffffe, v1
	v_cvt_u32_f32_e32 v1, v1
	s_mul_i32 s20, s22, s20
	s_add_i32 s20, s20, s0
	s_abs_i32 s24, s20
	v_readfirstlane_b32 s26, v1
	s_mul_i32 s25, s25, s26
	s_mul_hi_u32 s25, s26, s25
	s_add_i32 s26, s26, s25
	s_mul_hi_u32 s25, s24, s26
	s_mul_i32 s26, s25, s23
	s_xor_b32 s0, s20, s2
	s_sub_i32 s24, s24, s26
	s_ashr_i32 s0, s0, 31
	s_add_i32 s26, s25, 1
	s_sub_i32 s27, s24, s23
	s_cmp_ge_u32 s24, s23
	s_cselect_b32 s25, s26, s25
	s_cselect_b32 s24, s27, s24
	s_add_i32 s26, s25, 1
	s_cmp_ge_u32 s24, s23
	s_cselect_b32 s23, s26, s25
	s_xor_b32 s23, s23, s0
	s_sub_i32 s0, s23, s0
	s_mul_i32 s2, s0, s2
	s_sub_i32 s2, s20, s2
	s_add_i32 s2, s2, s1
	s_sub_i32 s2, s2, s22
.LBB3_9:
	s_mov_b32 s1, s2
	s_mov_b32 s2, s0
.LBB3_10:
	s_lshl_b64 s[14:15], s[14:15], 1
	s_add_u32 s12, s12, s14
	s_waitcnt lgkmcnt(0)
	s_mul_i32 s14, s21, s3
	s_addc_u32 s13, s13, s15
	s_ashr_i32 s15, s14, 31
	s_add_u32 s20, s18, s14
	s_addc_u32 s18, s19, s15
	s_lshl_b64 s[14:15], s[14:15], 1
	s_add_u32 s0, s16, s14
	s_addc_u32 s14, s17, s15
	s_add_i32 s10, s10, -1
	s_mul_i32 s15, s10, s21
	s_sub_i32 s6, s6, s15
	s_cmp_lt_u32 s3, s10
	v_lshrrev_b32_e32 v6, 1, v0
	s_cselect_b32 s15, s21, s6
	s_lshl_b32 s10, s1, 5
	v_and_b32_e32 v57, 16, v6
	s_add_i32 s3, s5, -1
	v_or_b32_e32 v1, s10, v57
	s_mul_i32 s16, s3, s8
	s_mul_i32 s3, s11, s7
	v_and_b32_e32 v54, 31, v0
	v_mul_lo_u32 v1, v1, s7
	v_lshl_add_u32 v7, v54, 3, v1
	s_add_i32 s1, s15, s3
	s_mul_i32 s6, s11, s9
	s_lshl_b32 s11, s2, 5
	s_lshl_b32 s2, s1, 1
	s_and_b32 s1, s14, 0xffff
	s_mov_b32 s3, 0x20000
	v_lshlrev_b32_e32 v2, 1, v7
	v_bitop3_b32 v106, v6, v54, 16 bitop3:0x6c
	v_lshlrev_b32_e32 v1, 8, v57
	v_and_b32_e32 v8, 24, v6
	buffer_load_dwordx4 v[2:5], v2, s[0:3], 0 offen
	v_lshl_or_b32 v107, v106, 3, v1
	v_and_b32_e32 v1, 15, v0
	v_or_b32_e32 v9, s11, v8
	v_add_u32_e32 v11, s7, v7
	v_mul_lo_u32 v9, v9, s8
	v_and_b32_e32 v108, 8, v6
	v_bitop3_b32 v109, v6, v1, 8 bitop3:0x6c
	v_lshlrev_b32_e32 v6, 1, v11
	v_lshl_add_u32 v82, v1, 4, v9
	v_lshlrev_b32_e32 v10, 8, v8
	buffer_load_dwordx4 v[6:9], v6, s[0:3], 0 offen
	v_lshlrev_b32_e32 v59, 2, v0
	v_and_b32_e32 v58, 0xc0, v59
	v_lshl_or_b32 v110, v109, 4, v10
	v_lshrrev_b32_e32 v10, 4, v58
	v_add_u32_e32 v15, s7, v11
	v_bitop3_b32 v55, v10, v0, 15 bitop3:0x78
	v_lshlrev_b32_e32 v10, 1, v15
	v_lshlrev_b32_e32 v14, 8, v1
	buffer_load_dwordx4 v[10:13], v10, s[0:3], 0 offen
	v_add_u32_e32 v18, s7, v15
	v_lshl_or_b32 v56, v55, 4, v14
	v_lshlrev_b32_e32 v14, 1, v18
	v_add_u32_e32 v18, s7, v18
	v_lshlrev_b32_e32 v26, 1, v18
	v_add_u32_e32 v27, s7, v18
	buffer_load_dwordx4 v[14:17], v14, s[0:3], 0 offen
	v_lshlrev_b32_e32 v28, 1, v27
	buffer_load_dwordx4 v[18:21], v26, s[0:3], 0 offen
	buffer_load_dwordx4 v[22:25], v28, s[0:3], 0 offen
	v_add_u32_e32 v26, s7, v27
	v_lshlrev_b32_e32 v34, 1, v26
	v_add_u32_e32 v35, s7, v26
	v_lshlrev_b32_e32 v36, 1, v35
	buffer_load_dwordx4 v[26:29], v34, s[0:3], 0 offen
	buffer_load_dwordx4 v[30:33], v36, s[0:3], 0 offen
	v_add_u32_e32 v34, s7, v35
	v_lshlrev_b32_e32 v42, 1, v34
	v_add_u32_e32 v43, s7, v34
	;; [unrolled: 6-line block ×4, first 2 shown]
	v_lshlrev_b32_e32 v68, 1, v67
	buffer_load_dwordx4 v[50:53], v66, s[0:3], 0 offen
	buffer_load_dwordx4 v[62:65], v68, s[0:3], 0 offen
	v_add_u32_e32 v66, s7, v67
	v_lshlrev_b32_e32 v74, 1, v66
	v_add_lshl_u32 v75, v66, s7, 1
	buffer_load_dwordx4 v[66:69], v74, s[0:3], 0 offen
	buffer_load_dwordx4 v[70:73], v75, s[0:3], 0 offen
	s_add_u32 s0, 0, 0
	s_addc_u32 s22, s15, s16
	s_and_b32 s21, s18, 0xffff
	s_mov_b32 s23, s3
	v_add_u32_e32 v83, s8, v82
	buffer_load_dwordx4 v[74:77], v82, s[20:23], 0 offen
	buffer_load_dwordx4 v[78:81], v83, s[20:23], 0 offen
	v_add_u32_e32 v90, s8, v83
	v_add_u32_e32 v91, s8, v90
	buffer_load_dwordx4 v[82:85], v90, s[20:23], 0 offen
	buffer_load_dwordx4 v[86:89], v91, s[20:23], 0 offen
	v_add_u32_e32 v98, s8, v91
	;; [unrolled: 4-line block ×3, first 2 shown]
	v_add_u32_e32 v112, s8, v111
	buffer_load_dwordx4 v[98:101], v111, s[20:23], 0 offen
	buffer_load_dwordx4 v[102:105], v112, s[20:23], 0 offen
	v_lshlrev_b32_e32 v111, 1, v107
	s_movk_i32 s0, 0x200
	v_lshrrev_b32_e32 v61, 3, v58
	v_bitop3_b32 v60, v0, v61, 15 bitop3:0x6c
	v_or_b32_e32 v115, 5, v61
	v_or_b32_e32 v124, 7, v61
	s_waitcnt vmcnt(23)
	ds_write_b128 v111, v[2:5]
	v_bitop3_b32 v2, v57, v54, 1 bitop3:0x36
	v_sub_u32_e32 v3, v2, v106
	v_lshlrev_b32_e32 v4, 3, v3
	v_bitop3_b32 v5, v57, v54, 2 bitop3:0x36
	v_lshl_add_u32 v3, v3, 4, v111
	v_sub_u32_e32 v2, v5, v2
	v_lshlrev_b32_e32 v106, 3, v2
	v_add3_u32 v4, v4, v107, v106
	v_lshlrev_b32_e32 v2, 4, v2
	v_add3_u32 v2, v3, s0, v2
	s_waitcnt vmcnt(22)
	ds_write_b128 v3, v[6:9] offset:512
	v_bitop3_b32 v6, v57, v54, 3 bitop3:0x36
	v_bitop3_b32 v8, v57, v54, 4 bitop3:0x36
	v_sub_u32_e32 v5, v6, v5
	v_sub_u32_e32 v6, v8, v6
	v_lshlrev_b32_e32 v7, 3, v5
	v_lshlrev_b32_e32 v9, 3, v6
	v_add3_u32 v4, v4, v7, v9
	v_bitop3_b32 v3, v57, v54, 5 bitop3:0x36
	v_bitop3_b32 v9, v57, v54, 6 bitop3:0x36
	v_sub_u32_e32 v7, v3, v8
	v_sub_u32_e32 v3, v9, v3
	s_waitcnt vmcnt(21)
	ds_write_b128 v2, v[10:13] offset:512
	v_lshlrev_b32_e32 v8, 3, v7
	v_lshlrev_b32_e32 v10, 3, v3
	v_lshlrev_b32_e32 v5, 4, v5
	v_add3_u32 v4, v4, v8, v10
	v_add3_u32 v2, v2, s0, v5
	v_bitop3_b32 v5, v57, v54, 7 bitop3:0x36
	v_bitop3_b32 v10, v57, v54, 8 bitop3:0x36
	v_sub_u32_e32 v8, v5, v9
	v_sub_u32_e32 v5, v10, v5
	v_lshlrev_b32_e32 v6, 4, v6
	s_waitcnt vmcnt(20)
	ds_write_b128 v2, v[14:17] offset:512
	v_lshlrev_b32_e32 v9, 3, v8
	v_lshlrev_b32_e32 v11, 3, v5
	v_add3_u32 v2, v2, s0, v6
	v_lshlrev_b32_e32 v7, 4, v7
	v_add3_u32 v4, v4, v9, v11
	s_waitcnt vmcnt(19)
	ds_write_b128 v2, v[18:21] offset:512
	v_bitop3_b32 v6, v57, v54, 9 bitop3:0x36
	v_bitop3_b32 v11, v57, v54, 10 bitop3:0x36
	v_add3_u32 v2, v2, s0, v7
	v_lshlrev_b32_e32 v3, 4, v3
	v_sub_u32_e32 v9, v6, v10
	v_sub_u32_e32 v6, v11, v6
	s_waitcnt vmcnt(18)
	ds_write_b128 v2, v[22:25] offset:512
	v_add3_u32 v2, v2, s0, v3
	v_lshlrev_b32_e32 v8, 4, v8
	v_lshlrev_b32_e32 v10, 3, v9
	;; [unrolled: 1-line block ×3, first 2 shown]
	s_waitcnt vmcnt(17)
	ds_write_b128 v2, v[26:29] offset:512
	v_add3_u32 v2, v2, s0, v8
	v_lshlrev_b32_e32 v5, 4, v5
	v_add3_u32 v4, v4, v10, v12
	v_bitop3_b32 v7, v57, v54, 11 bitop3:0x36
	v_bitop3_b32 v12, v57, v54, 12 bitop3:0x36
	s_waitcnt vmcnt(16)
	ds_write_b128 v2, v[30:33] offset:512
	v_add3_u32 v2, v2, s0, v5
	v_lshlrev_b32_e32 v5, 4, v9
	v_sub_u32_e32 v10, v7, v11
	v_sub_u32_e32 v7, v12, v7
	s_waitcnt vmcnt(15)
	ds_write_b128 v2, v[34:37] offset:512
	v_add3_u32 v2, v2, s0, v5
	v_lshlrev_b32_e32 v5, 4, v6
	v_lshlrev_b32_e32 v11, 3, v10
	;; [unrolled: 1-line block ×3, first 2 shown]
	v_bitop3_b32 v3, v57, v54, 13 bitop3:0x36
	s_waitcnt vmcnt(14)
	ds_write_b128 v2, v[38:41] offset:512
	v_add3_u32 v2, v2, s0, v5
	v_lshlrev_b32_e32 v5, 4, v10
	v_add3_u32 v4, v4, v11, v13
	v_sub_u32_e32 v11, v3, v12
	v_bitop3_b32 v13, v57, v54, 14 bitop3:0x36
	s_waitcnt vmcnt(13)
	ds_write_b128 v2, v[42:45] offset:512
	v_add3_u32 v2, v2, s0, v5
	v_lshlrev_b32_e32 v5, 4, v7
	v_sub_u32_e32 v3, v13, v3
	v_bitop3_b32 v8, v57, v54, 15 bitop3:0x36
	s_waitcnt vmcnt(12)
	ds_write_b128 v2, v[46:49] offset:512
	v_add3_u32 v2, v2, s0, v5
	v_lshlrev_b32_e32 v5, 4, v11
	v_lshlrev_b32_e32 v12, 3, v11
	;; [unrolled: 1-line block ×3, first 2 shown]
	v_sub_u32_e32 v8, v8, v13
	s_waitcnt vmcnt(11)
	ds_write_b128 v2, v[50:53] offset:512
	v_add3_u32 v2, v2, s0, v5
	v_lshlrev_b32_e32 v3, 4, v3
	v_add3_u32 v4, v4, v12, v14
	v_lshlrev_b32_e32 v8, 4, v8
	s_waitcnt vmcnt(10)
	ds_write_b128 v2, v[62:65] offset:512
	v_add3_u32 v2, v2, s0, v3
	v_lshl_add_u32 v4, v4, 1, v8
	s_waitcnt vmcnt(9)
	ds_write_b128 v2, v[66:69] offset:512
	s_waitcnt vmcnt(8)
	ds_write_b128 v4, v[70:73] offset:7680
	;; [unrolled: 2-line block ×3, first 2 shown]
	v_bitop3_b32 v2, v108, v1, 1 bitop3:0x36
	v_sub_u32_e32 v3, v2, v109
	v_bitop3_b32 v4, v108, v1, 2 bitop3:0x36
	v_lshl_add_u32 v3, v3, 4, v110
	v_sub_u32_e32 v2, v4, v2
	v_lshl_add_u32 v2, v2, 4, v3
	s_waitcnt vmcnt(6)
	ds_write_b128 v3, v[78:81] offset:16640
	v_bitop3_b32 v3, v108, v1, 3 bitop3:0x36
	v_sub_u32_e32 v4, v3, v4
	v_lshlrev_b32_e32 v4, 4, v4
	s_movk_i32 s0, 0x100
	v_add3_u32 v4, v2, s0, v4
	s_waitcnt vmcnt(5)
	ds_write_b128 v2, v[82:85] offset:16896
	v_bitop3_b32 v2, v108, v1, 4 bitop3:0x36
	v_sub_u32_e32 v3, v2, v3
	v_lshlrev_b32_e32 v3, 4, v3
	v_add3_u32 v3, v4, s0, v3
	s_waitcnt vmcnt(4)
	ds_write_b128 v4, v[86:89] offset:16896
	v_bitop3_b32 v4, v108, v1, 5 bitop3:0x36
	v_sub_u32_e32 v2, v4, v2
	v_lshlrev_b32_e32 v2, 4, v2
	;; [unrolled: 6-line block ×3, first 2 shown]
	v_add3_u32 v4, v2, s0, v4
	s_waitcnt vmcnt(2)
	ds_write_b128 v2, v[94:97] offset:16896
	v_bitop3_b32 v2, v108, v1, 7 bitop3:0x36
	v_sub_u32_e32 v2, v2, v3
	v_lshl_add_u32 v2, v2, 4, v4
	s_waitcnt vmcnt(1)
	ds_write_b128 v4, v[98:101] offset:16896
	s_waitcnt vmcnt(0)
	ds_write_b128 v2, v[102:105] offset:17152
	v_lshlrev_b32_e32 v2, 9, v1
	v_lshl_or_b32 v122, v60, 4, v2
	v_bitop3_b32 v2, v61, v1, 1 bitop3:0x36
	v_sub_u32_e32 v2, v2, v60
	v_or_b32_e32 v46, 16, v58
	v_lshl_add_u32 v2, v2, 4, v122
	v_lshrrev_b32_e32 v106, 3, v46
	s_waitcnt lgkmcnt(0)
	; wave barrier
	ds_read_b128 v[22:25], v122
	ds_read_b128 v[18:21], v2
	v_bitop3_b32 v2, v106, v0, 15 bitop3:0x78
	v_bitop3_b32 v3, v61, v1, 3 bitop3:0x36
	v_sub_u32_e32 v2, v2, v60
	v_sub_u32_e32 v3, v3, v60
	v_or_b32_e32 v54, 32, v58
	v_lshl_add_u32 v2, v2, 4, v122
	v_lshl_add_u32 v3, v3, 4, v122
	v_lshrrev_b32_e32 v114, 3, v54
	ds_read_b128 v[14:17], v2
	ds_read_b128 v[10:13], v3
	v_bitop3_b32 v2, v114, v0, 15 bitop3:0x78
	v_bitop3_b32 v3, v61, v1, 5 bitop3:0x36
	v_sub_u32_e32 v2, v2, v60
	v_sub_u32_e32 v3, v3, v60
	v_lshl_add_u32 v2, v2, 4, v122
	v_lshl_add_u32 v3, v3, 4, v122
	ds_read_b128 v[6:9], v2
	ds_read_b128 v[2:5], v3
	ds_read_b128 v[38:41], v56 offset:16384
	ds_read_b128 v[62:65], v56 offset:20480
	v_or_b32_e32 v57, 48, v58
	v_lshrrev_b32_e32 v123, 3, v57
	v_bitop3_b32 v26, v123, v0, 15 bitop3:0x78
	s_waitcnt lgkmcnt(1)
	v_and_b32_e32 v28, 0xffff, v38
	v_cvt_pk_f32_fp8_e32 v[34:35], v28
	v_bitop3_b32 v27, v61, v1, 7 bitop3:0x36
	v_sub_u32_e32 v26, v26, v60
	v_sub_u32_e32 v27, v27, v60
	v_cvt_pkrtz_f16_f32 v34, v34, v35
	v_lshrrev_b32_e32 v35, 16, v38
	v_cvt_pk_f32_fp8_e32 v[36:37], v35
	v_and_b32_e32 v35, 0xffff, v39
	v_cvt_pk_f32_fp8_e32 v[42:43], v35
	v_lshrrev_b32_e32 v35, 16, v39
	v_cvt_pk_f32_fp8_e32 v[38:39], v35
	v_and_b32_e32 v35, 0xffff, v40
	v_cvt_pk_f32_fp8_e32 v[44:45], v35
	v_cvt_pkrtz_f16_f32 v35, v36, v37
	v_cvt_pkrtz_f16_f32 v37, v38, v39
	v_lshrrev_b32_e32 v39, 16, v40
	v_lshrrev_b32_e32 v40, 4, v46
	v_bitop3_b32 v40, v40, v0, 15 bitop3:0x78
	v_sub_u32_e32 v40, v40, v55
	v_lshl_add_u32 v26, v26, 4, v122
	v_lshl_add_u32 v27, v27, 4, v122
	;; [unrolled: 1-line block ×3, first 2 shown]
	ds_read_b128 v[30:33], v26
	ds_read_b128 v[26:29], v27
	ds_read_b128 v[46:49], v40 offset:16384
	ds_read_b128 v[66:69], v40 offset:20480
	v_cvt_pkrtz_f16_f32 v36, v42, v43
	v_cvt_pk_f32_fp8_e32 v[42:43], v39
	v_and_b32_e32 v39, 0xffff, v41
	v_cvt_pkrtz_f16_f32 v38, v44, v45
	v_cvt_pk_f32_fp8_e32 v[44:45], v39
	v_lshrrev_b32_e32 v39, 16, v41
	v_cvt_pk_f32_fp8_e32 v[50:51], v39
	s_waitcnt lgkmcnt(1)
	v_and_b32_e32 v39, 0xffff, v46
	v_cvt_pk_f32_fp8_e32 v[52:53], v39
	v_cvt_pkrtz_f16_f32 v39, v42, v43
	v_lshrrev_b32_e32 v43, 16, v46
	v_cvt_pkrtz_f16_f32 v40, v44, v45
	v_cvt_pk_f32_fp8_e32 v[44:45], v43
	v_and_b32_e32 v43, 0xffff, v47
	v_cvt_pkrtz_f16_f32 v41, v50, v51
	v_cvt_pk_f32_fp8_e32 v[50:51], v43
	v_lshrrev_b32_e32 v43, 16, v47
	v_cvt_pk_f32_fp8_e32 v[46:47], v43
	v_and_b32_e32 v43, 0xffff, v48
	v_cvt_pkrtz_f16_f32 v42, v52, v53
	v_cvt_pk_f32_fp8_e32 v[52:53], v43
	v_cvt_pkrtz_f16_f32 v43, v44, v45
	v_cvt_pkrtz_f16_f32 v45, v46, v47
	v_lshrrev_b32_e32 v47, 16, v48
	v_lshrrev_b32_e32 v48, 4, v54
	v_bitop3_b32 v48, v48, v0, 15 bitop3:0x78
	v_sub_u32_e32 v48, v48, v55
	v_lshl_add_u32 v48, v48, 4, v56
	ds_read_b128 v[70:73], v48 offset:16384
	ds_read_b128 v[74:77], v48 offset:20480
	v_cvt_pkrtz_f16_f32 v44, v50, v51
	v_cvt_pk_f32_fp8_e32 v[50:51], v47
	v_and_b32_e32 v47, 0xffff, v49
	v_cvt_pkrtz_f16_f32 v46, v52, v53
	v_cvt_pk_f32_fp8_e32 v[52:53], v47
	v_lshrrev_b32_e32 v47, 16, v49
	v_cvt_pk_f32_fp8_e32 v[78:79], v47
	s_waitcnt lgkmcnt(1)
	v_and_b32_e32 v47, 0xffff, v70
	v_cvt_pk_f32_fp8_e32 v[80:81], v47
	v_cvt_pkrtz_f16_f32 v47, v50, v51
	v_lshrrev_b32_e32 v51, 16, v70
	v_cvt_pkrtz_f16_f32 v48, v52, v53
	v_cvt_pk_f32_fp8_e32 v[52:53], v51
	v_and_b32_e32 v51, 0xffff, v71
	v_cvt_pkrtz_f16_f32 v49, v78, v79
	v_cvt_pk_f32_fp8_e32 v[78:79], v51
	v_lshrrev_b32_e32 v51, 16, v71
	v_cvt_pk_f32_fp8_e32 v[70:71], v51
	v_and_b32_e32 v51, 0xffff, v72
	v_cvt_pkrtz_f16_f32 v50, v80, v81
	v_cvt_pk_f32_fp8_e32 v[80:81], v51
	v_lshrrev_b32_e32 v57, 4, v57
	v_cvt_pkrtz_f16_f32 v51, v52, v53
	v_cvt_pkrtz_f16_f32 v53, v70, v71
	v_lshrrev_b32_e32 v70, 16, v72
	v_bitop3_b32 v57, v57, v0, 15 bitop3:0x78
	v_cvt_pkrtz_f16_f32 v52, v78, v79
	v_cvt_pk_f32_fp8_e32 v[78:79], v70
	v_and_b32_e32 v70, 0xffff, v73
	v_sub_u32_e32 v55, v57, v55
	v_cvt_pkrtz_f16_f32 v54, v80, v81
	v_cvt_pk_f32_fp8_e32 v[80:81], v70
	v_lshrrev_b32_e32 v70, 16, v73
	v_lshl_add_u32 v84, v55, 4, v56
	v_cvt_pk_f32_fp8_e32 v[82:83], v70
	ds_read_b128 v[70:73], v84 offset:16384
	v_cvt_pkrtz_f16_f32 v55, v78, v79
	v_cvt_pkrtz_f16_f32 v56, v80, v81
	;; [unrolled: 1-line block ×3, first 2 shown]
	ds_read_b128 v[78:81], v84 offset:20480
	s_waitcnt lgkmcnt(1)
	v_and_b32_e32 v82, 0xffff, v70
	v_lshrrev_b32_e32 v70, 16, v70
	v_cvt_pk_f32_fp8_e32 v[84:85], v70
	v_and_b32_e32 v70, 0xffff, v71
	v_cvt_pk_f32_fp8_e32 v[86:87], v70
	v_lshrrev_b32_e32 v70, 16, v71
	v_cvt_pk_f32_fp8_e32 v[82:83], v82
	v_cvt_pk_f32_fp8_e32 v[70:71], v70
	v_or_b32_e32 v104, 1, v61
	v_or_b32_e32 v107, 3, v61
	v_cvt_pkrtz_f16_f32 v82, v82, v83
	v_cvt_pkrtz_f16_f32 v83, v84, v85
	v_cvt_pkrtz_f16_f32 v85, v70, v71
	v_and_b32_e32 v70, 0xffff, v72
	v_lshrrev_b32_e32 v72, 16, v72
	v_cvt_pkrtz_f16_f32 v84, v86, v87
	v_cvt_pk_f32_fp8_e32 v[70:71], v70
	v_cvt_pk_f32_fp8_e32 v[86:87], v72
	v_and_b32_e32 v72, 0xffff, v73
	v_cvt_pk_f32_fp8_e32 v[88:89], v72
	v_lshrrev_b32_e32 v72, 16, v73
	v_cvt_pk_f32_fp8_e32 v[90:91], v72
	v_cvt_pkrtz_f16_f32 v70, v70, v71
	v_cvt_pkrtz_f16_f32 v71, v86, v87
	v_and_b32_e32 v86, 0xffff, v62
	v_lshrrev_b32_e32 v62, 16, v62
	v_cvt_pkrtz_f16_f32 v72, v88, v89
	v_cvt_pk_f32_fp8_e32 v[88:89], v62
	v_and_b32_e32 v62, 0xffff, v63
	v_cvt_pkrtz_f16_f32 v73, v90, v91
	v_cvt_pk_f32_fp8_e32 v[90:91], v62
	v_lshrrev_b32_e32 v62, 16, v63
	v_cvt_pk_f32_fp8_e32 v[86:87], v86
	v_cvt_pk_f32_fp8_e32 v[62:63], v62
	v_bitop3_b32 v61, v1, v61, 16 bitop3:0x36
	v_sub_u32_e32 v61, v61, v60
	v_cvt_pkrtz_f16_f32 v86, v86, v87
	v_cvt_pkrtz_f16_f32 v87, v88, v89
	;; [unrolled: 1-line block ×3, first 2 shown]
	v_and_b32_e32 v62, 0xffff, v64
	v_lshrrev_b32_e32 v64, 16, v64
	v_cvt_pkrtz_f16_f32 v88, v90, v91
	v_cvt_pk_f32_fp8_e32 v[62:63], v62
	v_cvt_pk_f32_fp8_e32 v[90:91], v64
	v_and_b32_e32 v64, 0xffff, v65
	v_cvt_pk_f32_fp8_e32 v[92:93], v64
	v_lshrrev_b32_e32 v64, 16, v65
	v_cvt_pk_f32_fp8_e32 v[94:95], v64
	v_cvt_pkrtz_f16_f32 v62, v62, v63
	v_cvt_pkrtz_f16_f32 v63, v90, v91
	v_and_b32_e32 v90, 0xffff, v66
	v_lshrrev_b32_e32 v66, 16, v66
	v_cvt_pkrtz_f16_f32 v64, v92, v93
	v_cvt_pk_f32_fp8_e32 v[92:93], v66
	v_and_b32_e32 v66, 0xffff, v67
	v_cvt_pkrtz_f16_f32 v65, v94, v95
	v_cvt_pk_f32_fp8_e32 v[94:95], v66
	v_lshrrev_b32_e32 v66, 16, v67
	v_cvt_pk_f32_fp8_e32 v[90:91], v90
	v_cvt_pk_f32_fp8_e32 v[66:67], v66
	v_lshl_add_u32 v61, v61, 4, v122
	v_cvt_pkrtz_f16_f32 v90, v90, v91
	v_cvt_pkrtz_f16_f32 v91, v92, v93
	;; [unrolled: 1-line block ×3, first 2 shown]
	v_and_b32_e32 v66, 0xffff, v68
	v_lshrrev_b32_e32 v68, 16, v68
	v_cvt_pkrtz_f16_f32 v92, v94, v95
	v_cvt_pk_f32_fp8_e32 v[66:67], v66
	v_cvt_pk_f32_fp8_e32 v[94:95], v68
	v_and_b32_e32 v68, 0xffff, v69
	v_cvt_pk_f32_fp8_e32 v[96:97], v68
	v_lshrrev_b32_e32 v68, 16, v69
	v_cvt_pk_f32_fp8_e32 v[98:99], v68
	v_cvt_pkrtz_f16_f32 v66, v66, v67
	v_cvt_pkrtz_f16_f32 v67, v94, v95
	v_and_b32_e32 v94, 0xffff, v74
	v_lshrrev_b32_e32 v74, 16, v74
	v_cvt_pkrtz_f16_f32 v68, v96, v97
	v_cvt_pk_f32_fp8_e32 v[96:97], v74
	v_and_b32_e32 v74, 0xffff, v75
	v_cvt_pkrtz_f16_f32 v69, v98, v99
	v_cvt_pk_f32_fp8_e32 v[98:99], v74
	v_lshrrev_b32_e32 v74, 16, v75
	v_cvt_pk_f32_fp8_e32 v[94:95], v94
	v_cvt_pk_f32_fp8_e32 v[74:75], v74
	v_cvt_pkrtz_f16_f32 v94, v94, v95
	v_cvt_pkrtz_f16_f32 v95, v96, v97
	;; [unrolled: 1-line block ×3, first 2 shown]
	v_and_b32_e32 v74, 0xffff, v76
	v_lshrrev_b32_e32 v76, 16, v76
	v_cvt_pkrtz_f16_f32 v96, v98, v99
	v_cvt_pk_f32_fp8_e32 v[74:75], v74
	v_cvt_pk_f32_fp8_e32 v[98:99], v76
	v_and_b32_e32 v76, 0xffff, v77
	v_cvt_pk_f32_fp8_e32 v[100:101], v76
	v_lshrrev_b32_e32 v76, 16, v77
	v_cvt_pk_f32_fp8_e32 v[102:103], v76
	v_cvt_pkrtz_f16_f32 v74, v74, v75
	v_cvt_pkrtz_f16_f32 v75, v98, v99
	s_waitcnt lgkmcnt(0)
	v_and_b32_e32 v98, 0xffff, v78
	v_lshrrev_b32_e32 v78, 16, v78
	v_cvt_pkrtz_f16_f32 v76, v100, v101
	v_cvt_pk_f32_fp8_e32 v[100:101], v78
	v_and_b32_e32 v78, 0xffff, v79
	v_cvt_pkrtz_f16_f32 v77, v102, v103
	v_cvt_pk_f32_fp8_e32 v[102:103], v78
	v_lshrrev_b32_e32 v78, 16, v79
	v_cvt_pk_f32_fp8_e32 v[98:99], v98
	v_cvt_pk_f32_fp8_e32 v[78:79], v78
	v_cvt_pkrtz_f16_f32 v98, v98, v99
	v_cvt_pkrtz_f16_f32 v99, v100, v101
	;; [unrolled: 1-line block ×3, first 2 shown]
	v_and_b32_e32 v78, 0xffff, v80
	v_cvt_pk_f32_fp8_e32 v[130:131], v78
	v_lshrrev_b32_e32 v78, 16, v80
	v_cvt_pk_f32_fp8_e32 v[132:133], v78
	v_and_b32_e32 v78, 0xffff, v81
	v_cvt_pk_f32_fp8_e32 v[134:135], v78
	v_lshrrev_b32_e32 v78, 16, v81
	v_cvt_pk_f32_fp8_e32 v[136:137], v78
	v_bitop3_b32 v78, v1, v104, 16 bitop3:0x36
	v_sub_u32_e32 v78, v78, v60
	v_cvt_pkrtz_f16_f32 v100, v102, v103
	v_lshl_add_u32 v102, v78, 4, v122
	ds_read_b128 v[78:81], v61 offset:8192
	ds_read_b128 v[102:105], v102 offset:8192
	v_bitop3_b32 v61, v1, v106, 16 bitop3:0x36
	v_bitop3_b32 v106, v1, v107, 16 bitop3:0x36
	v_sub_u32_e32 v61, v61, v60
	v_sub_u32_e32 v106, v106, v60
	v_lshl_add_u32 v61, v61, 4, v122
	v_lshl_add_u32 v110, v106, 4, v122
	ds_read_b128 v[106:109], v61 offset:8192
	ds_read_b128 v[110:113], v110 offset:8192
	v_bitop3_b32 v61, v1, v114, 16 bitop3:0x36
	v_bitop3_b32 v114, v1, v115, 16 bitop3:0x36
	v_sub_u32_e32 v61, v61, v60
	v_sub_u32_e32 v114, v114, v60
	v_lshl_add_u32 v61, v61, 4, v122
	v_lshl_add_u32 v118, v114, 4, v122
	ds_read_b128 v[114:117], v61 offset:8192
	ds_read_b128 v[118:121], v118 offset:8192
	v_bitop3_b32 v61, v1, v123, 16 bitop3:0x36
	v_sub_u32_e32 v61, v61, v60
	v_bitop3_b32 v123, v1, v124, 16 bitop3:0x36
	v_lshl_add_u32 v61, v61, 4, v122
	v_sub_u32_e32 v60, v123, v60
	v_lshl_add_u32 v60, v60, 4, v122
	ds_read_b128 v[122:125], v61 offset:8192
	ds_read_b128 v[126:129], v60 offset:8192
	v_cvt_pkrtz_f16_f32 v130, v130, v131
	v_cvt_pkrtz_f16_f32 v131, v132, v133
	;; [unrolled: 1-line block ×4, first 2 shown]
	; sched_barrier mask(0x00000000)
	; wave barrier
	; sched_barrier mask(0x00000000)
	v_mfma_f32_16x16x32_f16 v[134:137], v[22:25], v[34:37], 0
	v_mfma_f32_16x16x32_f16 v[134:137], v[18:21], v[38:41], v[134:137]
	; sched_barrier mask(0x00000000)
	s_setprio 1
	; sched_barrier mask(0x00000000)
	v_mfma_f32_16x16x32_f16 v[22:25], v[22:25], v[86:89], 0
	v_mfma_f32_16x16x32_f16 v[18:21], v[18:21], v[62:65], v[22:25]
	s_waitcnt lgkmcnt(7)
	v_mfma_f32_16x16x32_f16 v[22:25], v[78:81], v[34:37], 0
	s_waitcnt lgkmcnt(6)
	v_mfma_f32_16x16x32_f16 v[22:25], v[102:105], v[38:41], v[22:25]
	v_mfma_f32_16x16x32_f16 v[38:41], v[14:17], v[42:45], v[134:137]
	v_mfma_f32_16x16x32_f16 v[14:17], v[14:17], v[90:93], v[18:21]
	v_mfma_f32_16x16x32_f16 v[34:37], v[78:81], v[86:89], 0
	v_mfma_f32_16x16x32_f16 v[38:41], v[10:13], v[46:49], v[38:41]
	v_mfma_f32_16x16x32_f16 v[10:13], v[10:13], v[66:69], v[14:17]
	s_waitcnt lgkmcnt(5)
	v_mfma_f32_16x16x32_f16 v[14:17], v[106:109], v[42:45], v[22:25]
	v_mfma_f32_16x16x32_f16 v[34:37], v[102:105], v[62:65], v[34:37]
	s_waitcnt lgkmcnt(4)
	v_mfma_f32_16x16x32_f16 v[14:17], v[110:113], v[46:49], v[14:17]
	v_mfma_f32_16x16x32_f16 v[22:25], v[6:9], v[50:53], v[38:41]
	;; [unrolled: 1-line block ×6, first 2 shown]
	s_waitcnt lgkmcnt(3)
	v_mfma_f32_16x16x32_f16 v[6:9], v[114:117], v[50:53], v[14:17]
	v_mfma_f32_16x16x32_f16 v[18:21], v[110:113], v[66:69], v[18:21]
	s_waitcnt lgkmcnt(2)
	v_mfma_f32_16x16x32_f16 v[6:9], v[118:121], v[54:57], v[6:9]
	v_mfma_f32_16x16x32_f16 v[10:13], v[114:117], v[94:97], v[18:21]
	;; [unrolled: 1-line block ×4, first 2 shown]
	s_waitcnt lgkmcnt(1)
	v_mfma_f32_16x16x32_f16 v[6:9], v[122:125], v[82:85], v[6:9]
	v_mfma_f32_16x16x32_f16 v[10:13], v[118:121], v[74:77], v[10:13]
	;; [unrolled: 1-line block ×4, first 2 shown]
	s_waitcnt lgkmcnt(0)
	v_mfma_f32_16x16x32_f16 v[6:9], v[126:129], v[70:73], v[6:9]
	; sched_barrier mask(0x00000000)
	s_waitcnt lgkmcnt(0)
	; wave barrier
	; sched_barrier mask(0x00000000)
	v_mfma_f32_16x16x32_f16 v[10:13], v[122:125], v[98:101], v[10:13]
	v_mfma_f32_16x16x32_f16 v[10:13], v[126:129], v[130:133], v[10:13]
	; sched_barrier mask(0x00000000)
	s_setprio 0
	; sched_barrier mask(0x00000000)
	v_lshrrev_b32_e32 v20, 2, v0
	v_and_b32_e32 v21, 12, v59
	v_or_b32_e32 v0, s11, v21
	v_or_b32_e32 v22, s10, v20
	v_mad_u64_u32 v[18:19], s[0:1], v22, s9, v[0:1]
	v_cvt_f16_f32_e32 v14, v14
	v_or_b32_e32 v1, v58, v1
	v_lshlrev_b32_e32 v19, 1, v1
	v_cvt_f16_f32_e32 v1, v15
	v_cvt_f16_f32_e32 v15, v16
	;; [unrolled: 1-line block ×3, first 2 shown]
	s_waitcnt lgkmcnt(0)
	; wave barrier
	ds_write_b16 v19, v14
	ds_write_b16 v19, v1 offset:32
	ds_write_b16 v19, v15 offset:64
	;; [unrolled: 1-line block ×3, first 2 shown]
	v_lshlrev_b32_e32 v1, 1, v21
	v_lshl_or_b32 v16, v20, 5, v1
	s_waitcnt lgkmcnt(0)
	; wave barrier
	ds_read_b64 v[14:15], v16
	v_cmp_gt_i32_e32 vcc, s5, v0
	v_cmp_gt_i32_e64 s[0:1], s4, v22
	s_add_i32 s2, s5, s6
	s_lshl_b32 s14, s2, 1
	s_mov_b32 s15, s3
	v_bfrev_b32_e32 v17, 1
	s_and_b64 s[2:3], s[0:1], vcc
	v_cndmask_b32_e64 v1, v17, 0, s[2:3]
	v_lshl_add_u32 v1, v18, 1, v1
	s_waitcnt lgkmcnt(0)
	buffer_atomic_pk_add_f16 v14, v1, s[12:15], 0 offen
	buffer_atomic_pk_add_f16 v15, v1, s[12:15], 4 offen
	v_or_b32_e32 v14, 16, v0
	v_cvt_f16_f32_e32 v0, v2
	v_cvt_f16_f32_e32 v1, v3
	;; [unrolled: 1-line block ×4, first 2 shown]
	s_waitcnt lgkmcnt(0)
	; wave barrier
	ds_write_b16 v19, v0
	ds_write_b16 v19, v1 offset:32
	ds_write_b16 v19, v2 offset:64
	ds_write_b16 v19, v3 offset:96
	s_waitcnt lgkmcnt(0)
	; wave barrier
	ds_read_b64 v[0:1], v16
	v_cmp_gt_i32_e64 s[2:3], s5, v14
	s_and_b64 s[0:1], s[0:1], s[2:3]
	v_add_u32_e32 v15, 16, v18
	v_cndmask_b32_e64 v2, v17, 0, s[0:1]
	v_lshl_add_u32 v2, v15, 1, v2
	s_waitcnt lgkmcnt(0)
	buffer_atomic_pk_add_f16 v0, v2, s[12:15], 0 offen
	buffer_atomic_pk_add_f16 v1, v2, s[12:15], 4 offen
	v_cvt_f16_f32_e32 v0, v10
	v_cvt_f16_f32_e32 v1, v11
	v_cvt_f16_f32_e32 v4, v12
	v_cvt_f16_f32_e32 v5, v13
	v_or_b32_e32 v2, 16, v22
	s_waitcnt lgkmcnt(0)
	; wave barrier
	ds_write_b16 v19, v0
	ds_write_b16 v19, v1 offset:32
	ds_write_b16 v19, v4 offset:64
	;; [unrolled: 1-line block ×3, first 2 shown]
	s_waitcnt lgkmcnt(0)
	; wave barrier
	ds_read_b64 v[0:1], v16
	v_cmp_gt_i32_e64 s[0:1], s4, v2
	s_lshl_b32 s5, s9, 4
	s_and_b64 s[2:3], s[0:1], s[2:3]
	v_add_u32_e32 v3, s5, v15
	v_cndmask_b32_e64 v2, v17, 0, s[2:3]
	v_lshl_add_u32 v2, v3, 1, v2
	s_waitcnt lgkmcnt(0)
	buffer_atomic_pk_add_f16 v0, v2, s[12:15], 0 offen
	buffer_atomic_pk_add_f16 v1, v2, s[12:15], 4 offen
	v_cvt_f16_f32_e32 v0, v6
	v_cvt_f16_f32_e32 v1, v7
	;; [unrolled: 1-line block ×4, first 2 shown]
	s_waitcnt lgkmcnt(0)
	; wave barrier
	ds_write_b16 v19, v0
	ds_write_b16 v19, v1 offset:32
	ds_write_b16 v19, v2 offset:64
	;; [unrolled: 1-line block ×3, first 2 shown]
	s_waitcnt lgkmcnt(0)
	; wave barrier
	ds_read_b64 v[0:1], v16
	s_and_b64 s[0:1], vcc, s[0:1]
	v_add_u32_e32 v2, s5, v18
	v_cndmask_b32_e64 v3, v17, 0, s[0:1]
	v_lshl_add_u32 v2, v2, 1, v3
	s_waitcnt lgkmcnt(0)
	buffer_atomic_pk_add_f16 v0, v2, s[12:15], 0 offen
	buffer_atomic_pk_add_f16 v1, v2, s[12:15], 4 offen
	s_endpgm
	.section	.rodata,"a",@progbits
	.p2align	6, 0x0
	.amdhsa_kernel _ZN2ck27kernel_gemm_xdl_cshuffle_v3INS_28GridwiseGemm_xdl_cshuffle_v3INS_13tensor_layout4gemm8RowMajorENS3_11ColumnMajorES4_DF16_NS_9f8_fnuz_tEfDF16_DF16_NS_16tensor_operation12element_wise11PassThroughES9_S9_LNS7_6device18GemmSpecializationE0ELi64ELi32ELi32ELi256ELi8ELi16ELi16ELi16ELi2ELi2ENS_8SequenceIJLi32ELi2ELi1EEEENSC_IJLi1ELi0ELi2EEEESE_Li2ELi8ELi8ELb0ELi0ENSC_IJLi16ELi4ELi1EEEESE_SE_Li2ELi16ELi16ELb0ELi0ELi1ELi1ENSC_IJLi1ELi16ELi1ELi4EEEELi4ELNS_26BlockGemmPipelineSchedulerE1ELNS_24BlockGemmPipelineVersionE0EDF16_DF16_Lb0ELb0ELb0ELi0ELb0EEELb0ELNS_25InMemoryDataOperationEnumE1ELi2ELNS_10TailNumberE10EEEvNT_8ArgumentE
		.amdhsa_group_segment_fixed_size 24576
		.amdhsa_private_segment_fixed_size 0
		.amdhsa_kernarg_size 112
		.amdhsa_user_sgpr_count 2
		.amdhsa_user_sgpr_dispatch_ptr 0
		.amdhsa_user_sgpr_queue_ptr 0
		.amdhsa_user_sgpr_kernarg_segment_ptr 1
		.amdhsa_user_sgpr_dispatch_id 0
		.amdhsa_user_sgpr_kernarg_preload_length 0
		.amdhsa_user_sgpr_kernarg_preload_offset 0
		.amdhsa_user_sgpr_private_segment_size 0
		.amdhsa_uses_dynamic_stack 0
		.amdhsa_enable_private_segment 0
		.amdhsa_system_sgpr_workgroup_id_x 1
		.amdhsa_system_sgpr_workgroup_id_y 0
		.amdhsa_system_sgpr_workgroup_id_z 1
		.amdhsa_system_sgpr_workgroup_info 0
		.amdhsa_system_vgpr_workitem_id 0
		.amdhsa_next_free_vgpr 169
		.amdhsa_next_free_sgpr 96
		.amdhsa_accum_offset 140
		.amdhsa_reserve_vcc 1
		.amdhsa_float_round_mode_32 0
		.amdhsa_float_round_mode_16_64 0
		.amdhsa_float_denorm_mode_32 3
		.amdhsa_float_denorm_mode_16_64 3
		.amdhsa_dx10_clamp 1
		.amdhsa_ieee_mode 1
		.amdhsa_fp16_overflow 0
		.amdhsa_tg_split 0
		.amdhsa_exception_fp_ieee_invalid_op 0
		.amdhsa_exception_fp_denorm_src 0
		.amdhsa_exception_fp_ieee_div_zero 0
		.amdhsa_exception_fp_ieee_overflow 0
		.amdhsa_exception_fp_ieee_underflow 0
		.amdhsa_exception_fp_ieee_inexact 0
		.amdhsa_exception_int_div_zero 0
	.end_amdhsa_kernel
	.section	.text._ZN2ck27kernel_gemm_xdl_cshuffle_v3INS_28GridwiseGemm_xdl_cshuffle_v3INS_13tensor_layout4gemm8RowMajorENS3_11ColumnMajorES4_DF16_NS_9f8_fnuz_tEfDF16_DF16_NS_16tensor_operation12element_wise11PassThroughES9_S9_LNS7_6device18GemmSpecializationE0ELi64ELi32ELi32ELi256ELi8ELi16ELi16ELi16ELi2ELi2ENS_8SequenceIJLi32ELi2ELi1EEEENSC_IJLi1ELi0ELi2EEEESE_Li2ELi8ELi8ELb0ELi0ENSC_IJLi16ELi4ELi1EEEESE_SE_Li2ELi16ELi16ELb0ELi0ELi1ELi1ENSC_IJLi1ELi16ELi1ELi4EEEELi4ELNS_26BlockGemmPipelineSchedulerE1ELNS_24BlockGemmPipelineVersionE0EDF16_DF16_Lb0ELb0ELb0ELi0ELb0EEELb0ELNS_25InMemoryDataOperationEnumE1ELi2ELNS_10TailNumberE10EEEvNT_8ArgumentE,"axG",@progbits,_ZN2ck27kernel_gemm_xdl_cshuffle_v3INS_28GridwiseGemm_xdl_cshuffle_v3INS_13tensor_layout4gemm8RowMajorENS3_11ColumnMajorES4_DF16_NS_9f8_fnuz_tEfDF16_DF16_NS_16tensor_operation12element_wise11PassThroughES9_S9_LNS7_6device18GemmSpecializationE0ELi64ELi32ELi32ELi256ELi8ELi16ELi16ELi16ELi2ELi2ENS_8SequenceIJLi32ELi2ELi1EEEENSC_IJLi1ELi0ELi2EEEESE_Li2ELi8ELi8ELb0ELi0ENSC_IJLi16ELi4ELi1EEEESE_SE_Li2ELi16ELi16ELb0ELi0ELi1ELi1ENSC_IJLi1ELi16ELi1ELi4EEEELi4ELNS_26BlockGemmPipelineSchedulerE1ELNS_24BlockGemmPipelineVersionE0EDF16_DF16_Lb0ELb0ELb0ELi0ELb0EEELb0ELNS_25InMemoryDataOperationEnumE1ELi2ELNS_10TailNumberE10EEEvNT_8ArgumentE,comdat
.Lfunc_end3:
	.size	_ZN2ck27kernel_gemm_xdl_cshuffle_v3INS_28GridwiseGemm_xdl_cshuffle_v3INS_13tensor_layout4gemm8RowMajorENS3_11ColumnMajorES4_DF16_NS_9f8_fnuz_tEfDF16_DF16_NS_16tensor_operation12element_wise11PassThroughES9_S9_LNS7_6device18GemmSpecializationE0ELi64ELi32ELi32ELi256ELi8ELi16ELi16ELi16ELi2ELi2ENS_8SequenceIJLi32ELi2ELi1EEEENSC_IJLi1ELi0ELi2EEEESE_Li2ELi8ELi8ELb0ELi0ENSC_IJLi16ELi4ELi1EEEESE_SE_Li2ELi16ELi16ELb0ELi0ELi1ELi1ENSC_IJLi1ELi16ELi1ELi4EEEELi4ELNS_26BlockGemmPipelineSchedulerE1ELNS_24BlockGemmPipelineVersionE0EDF16_DF16_Lb0ELb0ELb0ELi0ELb0EEELb0ELNS_25InMemoryDataOperationEnumE1ELi2ELNS_10TailNumberE10EEEvNT_8ArgumentE, .Lfunc_end3-_ZN2ck27kernel_gemm_xdl_cshuffle_v3INS_28GridwiseGemm_xdl_cshuffle_v3INS_13tensor_layout4gemm8RowMajorENS3_11ColumnMajorES4_DF16_NS_9f8_fnuz_tEfDF16_DF16_NS_16tensor_operation12element_wise11PassThroughES9_S9_LNS7_6device18GemmSpecializationE0ELi64ELi32ELi32ELi256ELi8ELi16ELi16ELi16ELi2ELi2ENS_8SequenceIJLi32ELi2ELi1EEEENSC_IJLi1ELi0ELi2EEEESE_Li2ELi8ELi8ELb0ELi0ENSC_IJLi16ELi4ELi1EEEESE_SE_Li2ELi16ELi16ELb0ELi0ELi1ELi1ENSC_IJLi1ELi16ELi1ELi4EEEELi4ELNS_26BlockGemmPipelineSchedulerE1ELNS_24BlockGemmPipelineVersionE0EDF16_DF16_Lb0ELb0ELb0ELi0ELb0EEELb0ELNS_25InMemoryDataOperationEnumE1ELi2ELNS_10TailNumberE10EEEvNT_8ArgumentE
                                        ; -- End function
	.set _ZN2ck27kernel_gemm_xdl_cshuffle_v3INS_28GridwiseGemm_xdl_cshuffle_v3INS_13tensor_layout4gemm8RowMajorENS3_11ColumnMajorES4_DF16_NS_9f8_fnuz_tEfDF16_DF16_NS_16tensor_operation12element_wise11PassThroughES9_S9_LNS7_6device18GemmSpecializationE0ELi64ELi32ELi32ELi256ELi8ELi16ELi16ELi16ELi2ELi2ENS_8SequenceIJLi32ELi2ELi1EEEENSC_IJLi1ELi0ELi2EEEESE_Li2ELi8ELi8ELb0ELi0ENSC_IJLi16ELi4ELi1EEEESE_SE_Li2ELi16ELi16ELb0ELi0ELi1ELi1ENSC_IJLi1ELi16ELi1ELi4EEEELi4ELNS_26BlockGemmPipelineSchedulerE1ELNS_24BlockGemmPipelineVersionE0EDF16_DF16_Lb0ELb0ELb0ELi0ELb0EEELb0ELNS_25InMemoryDataOperationEnumE1ELi2ELNS_10TailNumberE10EEEvNT_8ArgumentE.num_vgpr, 138
	.set _ZN2ck27kernel_gemm_xdl_cshuffle_v3INS_28GridwiseGemm_xdl_cshuffle_v3INS_13tensor_layout4gemm8RowMajorENS3_11ColumnMajorES4_DF16_NS_9f8_fnuz_tEfDF16_DF16_NS_16tensor_operation12element_wise11PassThroughES9_S9_LNS7_6device18GemmSpecializationE0ELi64ELi32ELi32ELi256ELi8ELi16ELi16ELi16ELi2ELi2ENS_8SequenceIJLi32ELi2ELi1EEEENSC_IJLi1ELi0ELi2EEEESE_Li2ELi8ELi8ELb0ELi0ENSC_IJLi16ELi4ELi1EEEESE_SE_Li2ELi16ELi16ELb0ELi0ELi1ELi1ENSC_IJLi1ELi16ELi1ELi4EEEELi4ELNS_26BlockGemmPipelineSchedulerE1ELNS_24BlockGemmPipelineVersionE0EDF16_DF16_Lb0ELb0ELb0ELi0ELb0EEELb0ELNS_25InMemoryDataOperationEnumE1ELi2ELNS_10TailNumberE10EEEvNT_8ArgumentE.num_agpr, 0
	.set _ZN2ck27kernel_gemm_xdl_cshuffle_v3INS_28GridwiseGemm_xdl_cshuffle_v3INS_13tensor_layout4gemm8RowMajorENS3_11ColumnMajorES4_DF16_NS_9f8_fnuz_tEfDF16_DF16_NS_16tensor_operation12element_wise11PassThroughES9_S9_LNS7_6device18GemmSpecializationE0ELi64ELi32ELi32ELi256ELi8ELi16ELi16ELi16ELi2ELi2ENS_8SequenceIJLi32ELi2ELi1EEEENSC_IJLi1ELi0ELi2EEEESE_Li2ELi8ELi8ELb0ELi0ENSC_IJLi16ELi4ELi1EEEESE_SE_Li2ELi16ELi16ELb0ELi0ELi1ELi1ENSC_IJLi1ELi16ELi1ELi4EEEELi4ELNS_26BlockGemmPipelineSchedulerE1ELNS_24BlockGemmPipelineVersionE0EDF16_DF16_Lb0ELb0ELb0ELi0ELb0EEELb0ELNS_25InMemoryDataOperationEnumE1ELi2ELNS_10TailNumberE10EEEvNT_8ArgumentE.numbered_sgpr, 28
	.set _ZN2ck27kernel_gemm_xdl_cshuffle_v3INS_28GridwiseGemm_xdl_cshuffle_v3INS_13tensor_layout4gemm8RowMajorENS3_11ColumnMajorES4_DF16_NS_9f8_fnuz_tEfDF16_DF16_NS_16tensor_operation12element_wise11PassThroughES9_S9_LNS7_6device18GemmSpecializationE0ELi64ELi32ELi32ELi256ELi8ELi16ELi16ELi16ELi2ELi2ENS_8SequenceIJLi32ELi2ELi1EEEENSC_IJLi1ELi0ELi2EEEESE_Li2ELi8ELi8ELb0ELi0ENSC_IJLi16ELi4ELi1EEEESE_SE_Li2ELi16ELi16ELb0ELi0ELi1ELi1ENSC_IJLi1ELi16ELi1ELi4EEEELi4ELNS_26BlockGemmPipelineSchedulerE1ELNS_24BlockGemmPipelineVersionE0EDF16_DF16_Lb0ELb0ELb0ELi0ELb0EEELb0ELNS_25InMemoryDataOperationEnumE1ELi2ELNS_10TailNumberE10EEEvNT_8ArgumentE.num_named_barrier, 0
	.set _ZN2ck27kernel_gemm_xdl_cshuffle_v3INS_28GridwiseGemm_xdl_cshuffle_v3INS_13tensor_layout4gemm8RowMajorENS3_11ColumnMajorES4_DF16_NS_9f8_fnuz_tEfDF16_DF16_NS_16tensor_operation12element_wise11PassThroughES9_S9_LNS7_6device18GemmSpecializationE0ELi64ELi32ELi32ELi256ELi8ELi16ELi16ELi16ELi2ELi2ENS_8SequenceIJLi32ELi2ELi1EEEENSC_IJLi1ELi0ELi2EEEESE_Li2ELi8ELi8ELb0ELi0ENSC_IJLi16ELi4ELi1EEEESE_SE_Li2ELi16ELi16ELb0ELi0ELi1ELi1ENSC_IJLi1ELi16ELi1ELi4EEEELi4ELNS_26BlockGemmPipelineSchedulerE1ELNS_24BlockGemmPipelineVersionE0EDF16_DF16_Lb0ELb0ELb0ELi0ELb0EEELb0ELNS_25InMemoryDataOperationEnumE1ELi2ELNS_10TailNumberE10EEEvNT_8ArgumentE.private_seg_size, 0
	.set _ZN2ck27kernel_gemm_xdl_cshuffle_v3INS_28GridwiseGemm_xdl_cshuffle_v3INS_13tensor_layout4gemm8RowMajorENS3_11ColumnMajorES4_DF16_NS_9f8_fnuz_tEfDF16_DF16_NS_16tensor_operation12element_wise11PassThroughES9_S9_LNS7_6device18GemmSpecializationE0ELi64ELi32ELi32ELi256ELi8ELi16ELi16ELi16ELi2ELi2ENS_8SequenceIJLi32ELi2ELi1EEEENSC_IJLi1ELi0ELi2EEEESE_Li2ELi8ELi8ELb0ELi0ENSC_IJLi16ELi4ELi1EEEESE_SE_Li2ELi16ELi16ELb0ELi0ELi1ELi1ENSC_IJLi1ELi16ELi1ELi4EEEELi4ELNS_26BlockGemmPipelineSchedulerE1ELNS_24BlockGemmPipelineVersionE0EDF16_DF16_Lb0ELb0ELb0ELi0ELb0EEELb0ELNS_25InMemoryDataOperationEnumE1ELi2ELNS_10TailNumberE10EEEvNT_8ArgumentE.uses_vcc, 1
	.set _ZN2ck27kernel_gemm_xdl_cshuffle_v3INS_28GridwiseGemm_xdl_cshuffle_v3INS_13tensor_layout4gemm8RowMajorENS3_11ColumnMajorES4_DF16_NS_9f8_fnuz_tEfDF16_DF16_NS_16tensor_operation12element_wise11PassThroughES9_S9_LNS7_6device18GemmSpecializationE0ELi64ELi32ELi32ELi256ELi8ELi16ELi16ELi16ELi2ELi2ENS_8SequenceIJLi32ELi2ELi1EEEENSC_IJLi1ELi0ELi2EEEESE_Li2ELi8ELi8ELb0ELi0ENSC_IJLi16ELi4ELi1EEEESE_SE_Li2ELi16ELi16ELb0ELi0ELi1ELi1ENSC_IJLi1ELi16ELi1ELi4EEEELi4ELNS_26BlockGemmPipelineSchedulerE1ELNS_24BlockGemmPipelineVersionE0EDF16_DF16_Lb0ELb0ELb0ELi0ELb0EEELb0ELNS_25InMemoryDataOperationEnumE1ELi2ELNS_10TailNumberE10EEEvNT_8ArgumentE.uses_flat_scratch, 0
	.set _ZN2ck27kernel_gemm_xdl_cshuffle_v3INS_28GridwiseGemm_xdl_cshuffle_v3INS_13tensor_layout4gemm8RowMajorENS3_11ColumnMajorES4_DF16_NS_9f8_fnuz_tEfDF16_DF16_NS_16tensor_operation12element_wise11PassThroughES9_S9_LNS7_6device18GemmSpecializationE0ELi64ELi32ELi32ELi256ELi8ELi16ELi16ELi16ELi2ELi2ENS_8SequenceIJLi32ELi2ELi1EEEENSC_IJLi1ELi0ELi2EEEESE_Li2ELi8ELi8ELb0ELi0ENSC_IJLi16ELi4ELi1EEEESE_SE_Li2ELi16ELi16ELb0ELi0ELi1ELi1ENSC_IJLi1ELi16ELi1ELi4EEEELi4ELNS_26BlockGemmPipelineSchedulerE1ELNS_24BlockGemmPipelineVersionE0EDF16_DF16_Lb0ELb0ELb0ELi0ELb0EEELb0ELNS_25InMemoryDataOperationEnumE1ELi2ELNS_10TailNumberE10EEEvNT_8ArgumentE.has_dyn_sized_stack, 0
	.set _ZN2ck27kernel_gemm_xdl_cshuffle_v3INS_28GridwiseGemm_xdl_cshuffle_v3INS_13tensor_layout4gemm8RowMajorENS3_11ColumnMajorES4_DF16_NS_9f8_fnuz_tEfDF16_DF16_NS_16tensor_operation12element_wise11PassThroughES9_S9_LNS7_6device18GemmSpecializationE0ELi64ELi32ELi32ELi256ELi8ELi16ELi16ELi16ELi2ELi2ENS_8SequenceIJLi32ELi2ELi1EEEENSC_IJLi1ELi0ELi2EEEESE_Li2ELi8ELi8ELb0ELi0ENSC_IJLi16ELi4ELi1EEEESE_SE_Li2ELi16ELi16ELb0ELi0ELi1ELi1ENSC_IJLi1ELi16ELi1ELi4EEEELi4ELNS_26BlockGemmPipelineSchedulerE1ELNS_24BlockGemmPipelineVersionE0EDF16_DF16_Lb0ELb0ELb0ELi0ELb0EEELb0ELNS_25InMemoryDataOperationEnumE1ELi2ELNS_10TailNumberE10EEEvNT_8ArgumentE.has_recursion, 0
	.set _ZN2ck27kernel_gemm_xdl_cshuffle_v3INS_28GridwiseGemm_xdl_cshuffle_v3INS_13tensor_layout4gemm8RowMajorENS3_11ColumnMajorES4_DF16_NS_9f8_fnuz_tEfDF16_DF16_NS_16tensor_operation12element_wise11PassThroughES9_S9_LNS7_6device18GemmSpecializationE0ELi64ELi32ELi32ELi256ELi8ELi16ELi16ELi16ELi2ELi2ENS_8SequenceIJLi32ELi2ELi1EEEENSC_IJLi1ELi0ELi2EEEESE_Li2ELi8ELi8ELb0ELi0ENSC_IJLi16ELi4ELi1EEEESE_SE_Li2ELi16ELi16ELb0ELi0ELi1ELi1ENSC_IJLi1ELi16ELi1ELi4EEEELi4ELNS_26BlockGemmPipelineSchedulerE1ELNS_24BlockGemmPipelineVersionE0EDF16_DF16_Lb0ELb0ELb0ELi0ELb0EEELb0ELNS_25InMemoryDataOperationEnumE1ELi2ELNS_10TailNumberE10EEEvNT_8ArgumentE.has_indirect_call, 0
	.section	.AMDGPU.csdata,"",@progbits
; Kernel info:
; codeLenInByte = 4744
; TotalNumSgprs: 34
; NumVgprs: 138
; NumAgprs: 0
; TotalNumVgprs: 138
; ScratchSize: 0
; MemoryBound: 0
; FloatMode: 240
; IeeeMode: 1
; LDSByteSize: 24576 bytes/workgroup (compile time only)
; SGPRBlocks: 12
; VGPRBlocks: 21
; NumSGPRsForWavesPerEU: 102
; NumVGPRsForWavesPerEU: 169
; AccumOffset: 140
; Occupancy: 2
; WaveLimiterHint : 0
; COMPUTE_PGM_RSRC2:SCRATCH_EN: 0
; COMPUTE_PGM_RSRC2:USER_SGPR: 2
; COMPUTE_PGM_RSRC2:TRAP_HANDLER: 0
; COMPUTE_PGM_RSRC2:TGID_X_EN: 1
; COMPUTE_PGM_RSRC2:TGID_Y_EN: 0
; COMPUTE_PGM_RSRC2:TGID_Z_EN: 1
; COMPUTE_PGM_RSRC2:TIDIG_COMP_CNT: 0
; COMPUTE_PGM_RSRC3_GFX90A:ACCUM_OFFSET: 34
; COMPUTE_PGM_RSRC3_GFX90A:TG_SPLIT: 0
	.section	.text._ZN2ck27kernel_gemm_xdl_cshuffle_v3INS_28GridwiseGemm_xdl_cshuffle_v3INS_13tensor_layout4gemm8RowMajorENS3_11ColumnMajorES4_DF16_NS_9f8_fnuz_tEfDF16_DF16_NS_16tensor_operation12element_wise11PassThroughES9_S9_LNS7_6device18GemmSpecializationE0ELi64ELi32ELi32ELi256ELi8ELi16ELi16ELi16ELi2ELi2ENS_8SequenceIJLi32ELi2ELi1EEEENSC_IJLi1ELi0ELi2EEEESE_Li2ELi8ELi8ELb0ELi0ENSC_IJLi16ELi4ELi1EEEESE_SE_Li2ELi16ELi16ELb0ELi0ELi1ELi1ENSC_IJLi1ELi16ELi1ELi4EEEELi4ELNS_26BlockGemmPipelineSchedulerE1ELNS_24BlockGemmPipelineVersionE0EDF16_DF16_Lb0ELb0ELb0ELi0ELb0EEELb0ELNS_25InMemoryDataOperationEnumE0ELi2ELNS_10TailNumberE10EEEvNT_8ArgumentE,"axG",@progbits,_ZN2ck27kernel_gemm_xdl_cshuffle_v3INS_28GridwiseGemm_xdl_cshuffle_v3INS_13tensor_layout4gemm8RowMajorENS3_11ColumnMajorES4_DF16_NS_9f8_fnuz_tEfDF16_DF16_NS_16tensor_operation12element_wise11PassThroughES9_S9_LNS7_6device18GemmSpecializationE0ELi64ELi32ELi32ELi256ELi8ELi16ELi16ELi16ELi2ELi2ENS_8SequenceIJLi32ELi2ELi1EEEENSC_IJLi1ELi0ELi2EEEESE_Li2ELi8ELi8ELb0ELi0ENSC_IJLi16ELi4ELi1EEEESE_SE_Li2ELi16ELi16ELb0ELi0ELi1ELi1ENSC_IJLi1ELi16ELi1ELi4EEEELi4ELNS_26BlockGemmPipelineSchedulerE1ELNS_24BlockGemmPipelineVersionE0EDF16_DF16_Lb0ELb0ELb0ELi0ELb0EEELb0ELNS_25InMemoryDataOperationEnumE0ELi2ELNS_10TailNumberE10EEEvNT_8ArgumentE,comdat
	.protected	_ZN2ck27kernel_gemm_xdl_cshuffle_v3INS_28GridwiseGemm_xdl_cshuffle_v3INS_13tensor_layout4gemm8RowMajorENS3_11ColumnMajorES4_DF16_NS_9f8_fnuz_tEfDF16_DF16_NS_16tensor_operation12element_wise11PassThroughES9_S9_LNS7_6device18GemmSpecializationE0ELi64ELi32ELi32ELi256ELi8ELi16ELi16ELi16ELi2ELi2ENS_8SequenceIJLi32ELi2ELi1EEEENSC_IJLi1ELi0ELi2EEEESE_Li2ELi8ELi8ELb0ELi0ENSC_IJLi16ELi4ELi1EEEESE_SE_Li2ELi16ELi16ELb0ELi0ELi1ELi1ENSC_IJLi1ELi16ELi1ELi4EEEELi4ELNS_26BlockGemmPipelineSchedulerE1ELNS_24BlockGemmPipelineVersionE0EDF16_DF16_Lb0ELb0ELb0ELi0ELb0EEELb0ELNS_25InMemoryDataOperationEnumE0ELi2ELNS_10TailNumberE10EEEvNT_8ArgumentE ; -- Begin function _ZN2ck27kernel_gemm_xdl_cshuffle_v3INS_28GridwiseGemm_xdl_cshuffle_v3INS_13tensor_layout4gemm8RowMajorENS3_11ColumnMajorES4_DF16_NS_9f8_fnuz_tEfDF16_DF16_NS_16tensor_operation12element_wise11PassThroughES9_S9_LNS7_6device18GemmSpecializationE0ELi64ELi32ELi32ELi256ELi8ELi16ELi16ELi16ELi2ELi2ENS_8SequenceIJLi32ELi2ELi1EEEENSC_IJLi1ELi0ELi2EEEESE_Li2ELi8ELi8ELb0ELi0ENSC_IJLi16ELi4ELi1EEEESE_SE_Li2ELi16ELi16ELb0ELi0ELi1ELi1ENSC_IJLi1ELi16ELi1ELi4EEEELi4ELNS_26BlockGemmPipelineSchedulerE1ELNS_24BlockGemmPipelineVersionE0EDF16_DF16_Lb0ELb0ELb0ELi0ELb0EEELb0ELNS_25InMemoryDataOperationEnumE0ELi2ELNS_10TailNumberE10EEEvNT_8ArgumentE
	.globl	_ZN2ck27kernel_gemm_xdl_cshuffle_v3INS_28GridwiseGemm_xdl_cshuffle_v3INS_13tensor_layout4gemm8RowMajorENS3_11ColumnMajorES4_DF16_NS_9f8_fnuz_tEfDF16_DF16_NS_16tensor_operation12element_wise11PassThroughES9_S9_LNS7_6device18GemmSpecializationE0ELi64ELi32ELi32ELi256ELi8ELi16ELi16ELi16ELi2ELi2ENS_8SequenceIJLi32ELi2ELi1EEEENSC_IJLi1ELi0ELi2EEEESE_Li2ELi8ELi8ELb0ELi0ENSC_IJLi16ELi4ELi1EEEESE_SE_Li2ELi16ELi16ELb0ELi0ELi1ELi1ENSC_IJLi1ELi16ELi1ELi4EEEELi4ELNS_26BlockGemmPipelineSchedulerE1ELNS_24BlockGemmPipelineVersionE0EDF16_DF16_Lb0ELb0ELb0ELi0ELb0EEELb0ELNS_25InMemoryDataOperationEnumE0ELi2ELNS_10TailNumberE10EEEvNT_8ArgumentE
	.p2align	8
	.type	_ZN2ck27kernel_gemm_xdl_cshuffle_v3INS_28GridwiseGemm_xdl_cshuffle_v3INS_13tensor_layout4gemm8RowMajorENS3_11ColumnMajorES4_DF16_NS_9f8_fnuz_tEfDF16_DF16_NS_16tensor_operation12element_wise11PassThroughES9_S9_LNS7_6device18GemmSpecializationE0ELi64ELi32ELi32ELi256ELi8ELi16ELi16ELi16ELi2ELi2ENS_8SequenceIJLi32ELi2ELi1EEEENSC_IJLi1ELi0ELi2EEEESE_Li2ELi8ELi8ELb0ELi0ENSC_IJLi16ELi4ELi1EEEESE_SE_Li2ELi16ELi16ELb0ELi0ELi1ELi1ENSC_IJLi1ELi16ELi1ELi4EEEELi4ELNS_26BlockGemmPipelineSchedulerE1ELNS_24BlockGemmPipelineVersionE0EDF16_DF16_Lb0ELb0ELb0ELi0ELb0EEELb0ELNS_25InMemoryDataOperationEnumE0ELi2ELNS_10TailNumberE10EEEvNT_8ArgumentE,@function
_ZN2ck27kernel_gemm_xdl_cshuffle_v3INS_28GridwiseGemm_xdl_cshuffle_v3INS_13tensor_layout4gemm8RowMajorENS3_11ColumnMajorES4_DF16_NS_9f8_fnuz_tEfDF16_DF16_NS_16tensor_operation12element_wise11PassThroughES9_S9_LNS7_6device18GemmSpecializationE0ELi64ELi32ELi32ELi256ELi8ELi16ELi16ELi16ELi2ELi2ENS_8SequenceIJLi32ELi2ELi1EEEENSC_IJLi1ELi0ELi2EEEESE_Li2ELi8ELi8ELb0ELi0ENSC_IJLi16ELi4ELi1EEEESE_SE_Li2ELi16ELi16ELb0ELi0ELi1ELi1ENSC_IJLi1ELi16ELi1ELi4EEEELi4ELNS_26BlockGemmPipelineSchedulerE1ELNS_24BlockGemmPipelineVersionE0EDF16_DF16_Lb0ELb0ELb0ELi0ELb0EEELb0ELNS_25InMemoryDataOperationEnumE0ELi2ELNS_10TailNumberE10EEEvNT_8ArgumentE: ; @_ZN2ck27kernel_gemm_xdl_cshuffle_v3INS_28GridwiseGemm_xdl_cshuffle_v3INS_13tensor_layout4gemm8RowMajorENS3_11ColumnMajorES4_DF16_NS_9f8_fnuz_tEfDF16_DF16_NS_16tensor_operation12element_wise11PassThroughES9_S9_LNS7_6device18GemmSpecializationE0ELi64ELi32ELi32ELi256ELi8ELi16ELi16ELi16ELi2ELi2ENS_8SequenceIJLi32ELi2ELi1EEEENSC_IJLi1ELi0ELi2EEEESE_Li2ELi8ELi8ELb0ELi0ENSC_IJLi16ELi4ELi1EEEESE_SE_Li2ELi16ELi16ELb0ELi0ELi1ELi1ENSC_IJLi1ELi16ELi1ELi4EEEELi4ELNS_26BlockGemmPipelineSchedulerE1ELNS_24BlockGemmPipelineVersionE0EDF16_DF16_Lb0ELb0ELb0ELi0ELb0EEELb0ELNS_25InMemoryDataOperationEnumE0ELi2ELNS_10TailNumberE10EEEvNT_8ArgumentE
; %bb.0:
	s_load_dwordx8 s[4:11], s[0:1], 0x10
	s_waitcnt lgkmcnt(0)
	s_load_dword s11, s[0:1], 0x68
	s_load_dwordx2 s[12:13], s[0:1], 0x60
	s_load_dwordx4 s[16:19], s[0:1], 0x50
	s_cmp_gt_i32 s10, 1
	s_cselect_b64 s[14:15], -1, 0
	s_waitcnt lgkmcnt(0)
	s_bitcmp1_b32 s11, 0
	s_cselect_b64 s[20:21], -1, 0
	s_and_b64 s[14:15], s[14:15], s[20:21]
	s_andn2_b64 vcc, exec, s[14:15]
	s_mov_b64 s[14:15], 0
	s_cbranch_vccnz .LBB4_2
; %bb.1:
	s_mul_i32 s11, s4, s3
	s_mul_i32 s14, s11, s5
	s_ashr_i32 s15, s14, 31
.LBB4_2:
	s_load_dword s22, s[0:1], 0x34
	s_add_i32 s21, s4, -1
	s_cmp_lt_u32 s21, 32
	s_mov_b32 s1, 0
	s_cbranch_scc1 .LBB4_10
; %bb.3:
	s_add_i32 s0, s5, -1
	s_cmp_lt_u32 s0, 32
	s_mov_b32 s0, 0
	s_cbranch_scc1 .LBB4_9
; %bb.4:
	s_add_i32 s0, s4, 31
	s_ashr_i32 s1, s0, 31
	s_lshr_b32 s1, s1, 27
	s_add_i32 s0, s0, s1
	s_ashr_i32 s20, s0, 5
	s_add_i32 s0, s5, 31
	s_ashr_i32 s1, s0, 31
	s_lshr_b32 s1, s1, 27
	s_add_i32 s0, s0, s1
	s_ashr_i32 s11, s0, 5
	s_mul_i32 s0, s11, s20
	s_add_i32 s1, s0, 7
	s_ashr_i32 s23, s1, 31
	s_lshr_b32 s23, s23, 29
	s_add_i32 s1, s1, s23
	s_ashr_i32 s23, s1, 3
	s_and_b32 s1, s1, -8
	s_sub_i32 s24, s0, s1
	s_ashr_i32 s0, s2, 31
	s_lshr_b32 s0, s0, 29
	s_add_i32 s26, s2, s0
	s_and_b32 s0, s26, -8
	s_add_i32 s24, s24, 8
	s_sub_i32 s25, s2, s0
	s_cmp_gt_i32 s25, s24
	s_cbranch_scc1 .LBB4_6
; %bb.5:
	s_mul_i32 s2, s23, s25
	s_ashr_i32 s0, s26, 3
	s_cbranch_execz .LBB4_7
	s_branch .LBB4_8
.LBB4_6:
                                        ; implicit-def: $sgpr2
	s_ashr_i32 s0, s26, 3
.LBB4_7:
	s_add_i32 s1, s23, -1
	s_mul_i32 s1, s1, s25
	s_add_i32 s2, s24, s1
.LBB4_8:
	s_abs_i32 s1, s11
	v_cvt_f32_u32_e32 v1, s1
	s_sub_i32 s24, 0, s1
	s_add_i32 s0, s2, s0
	s_abs_i32 s23, s0
	v_rcp_iflag_f32_e32 v1, v1
	s_xor_b32 s2, s0, s11
	s_ashr_i32 s2, s2, 31
	v_mul_f32_e32 v1, 0x4f7ffffe, v1
	v_cvt_u32_f32_e32 v1, v1
	s_nop 0
	v_readfirstlane_b32 s25, v1
	s_mul_i32 s24, s24, s25
	s_mul_hi_u32 s24, s25, s24
	s_add_i32 s25, s25, s24
	s_mul_hi_u32 s24, s23, s25
	s_mul_i32 s25, s24, s1
	s_sub_i32 s23, s23, s25
	s_add_i32 s26, s24, 1
	s_sub_i32 s25, s23, s1
	s_cmp_ge_u32 s23, s1
	s_cselect_b32 s24, s26, s24
	s_cselect_b32 s23, s25, s23
	s_add_i32 s25, s24, 1
	s_cmp_ge_u32 s23, s1
	s_cselect_b32 s1, s25, s24
	s_xor_b32 s1, s1, s2
	s_lshr_b32 s23, s20, 30
	s_sub_i32 s1, s1, s2
	s_add_i32 s23, s20, s23
	s_mul_i32 s2, s1, s11
	s_sub_i32 s0, s0, s2
	s_and_b32 s2, s23, -4
	s_sub_i32 s20, s20, s2
	s_cmp_ge_i32 s1, s2
	s_cselect_b32 s2, s20, 4
	s_abs_i32 s23, s2
	v_cvt_f32_u32_e32 v1, s23
	s_ashr_i32 s20, s1, 31
	s_lshr_b32 s20, s20, 30
	s_add_i32 s20, s1, s20
	v_rcp_iflag_f32_e32 v1, v1
	s_and_b32 s20, s20, -4
	s_sub_i32 s20, s1, s20
	s_sub_i32 s25, 0, s23
	v_mul_f32_e32 v1, 0x4f7ffffe, v1
	v_cvt_u32_f32_e32 v1, v1
	s_mul_i32 s11, s20, s11
	s_add_i32 s11, s11, s0
	s_abs_i32 s24, s11
	v_readfirstlane_b32 s26, v1
	s_mul_i32 s25, s25, s26
	s_mul_hi_u32 s25, s26, s25
	s_add_i32 s26, s26, s25
	s_mul_hi_u32 s25, s24, s26
	s_mul_i32 s26, s25, s23
	s_xor_b32 s0, s11, s2
	s_sub_i32 s24, s24, s26
	s_ashr_i32 s0, s0, 31
	s_add_i32 s26, s25, 1
	s_sub_i32 s27, s24, s23
	s_cmp_ge_u32 s24, s23
	s_cselect_b32 s25, s26, s25
	s_cselect_b32 s24, s27, s24
	s_add_i32 s26, s25, 1
	s_cmp_ge_u32 s24, s23
	s_cselect_b32 s23, s26, s25
	s_xor_b32 s23, s23, s0
	s_sub_i32 s0, s23, s0
	s_mul_i32 s2, s0, s2
	s_sub_i32 s2, s11, s2
	s_add_i32 s2, s2, s1
	s_sub_i32 s2, s2, s20
.LBB4_9:
	s_mov_b32 s1, s2
	s_mov_b32 s2, s0
.LBB4_10:
	s_lshl_b64 s[14:15], s[14:15], 1
	s_add_u32 s12, s12, s14
	s_waitcnt lgkmcnt(0)
	s_mul_i32 s14, s22, s3
	s_addc_u32 s11, s13, s15
	s_ashr_i32 s15, s14, 31
	s_add_u32 s20, s18, s14
	s_addc_u32 s18, s19, s15
	s_lshl_b64 s[14:15], s[14:15], 1
	s_add_u32 s0, s16, s14
	s_addc_u32 s14, s17, s15
	s_add_i32 s10, s10, -1
	s_mul_i32 s13, s10, s22
	s_sub_i32 s6, s6, s13
	s_cmp_lt_u32 s3, s10
	v_lshrrev_b32_e32 v6, 1, v0
	s_cselect_b32 s15, s22, s6
	s_lshl_b32 s10, s1, 5
	v_and_b32_e32 v57, 16, v6
	v_or_b32_e32 v1, s10, v57
	s_mul_i32 s6, s21, s9
	s_mul_i32 s21, s21, s7
	v_and_b32_e32 v54, 31, v0
	v_mul_lo_u32 v1, v1, s7
	s_add_i32 s3, s5, -1
	v_lshl_add_u32 v7, v54, 3, v1
	s_add_i32 s1, s15, s21
	s_mul_i32 s16, s3, s8
	s_lshl_b32 s13, s2, 5
	s_lshl_b32 s2, s1, 1
	s_and_b32 s1, s14, 0xffff
	s_mov_b32 s3, 0x20000
	v_lshlrev_b32_e32 v2, 1, v7
	v_bitop3_b32 v106, v6, v54, 16 bitop3:0x6c
	v_lshlrev_b32_e32 v1, 8, v57
	v_and_b32_e32 v8, 24, v6
	buffer_load_dwordx4 v[2:5], v2, s[0:3], 0 offen
	v_lshl_or_b32 v107, v106, 3, v1
	v_and_b32_e32 v1, 15, v0
	v_or_b32_e32 v9, s13, v8
	v_add_u32_e32 v11, s7, v7
	v_mul_lo_u32 v9, v9, s8
	v_and_b32_e32 v108, 8, v6
	v_bitop3_b32 v109, v6, v1, 8 bitop3:0x6c
	v_lshlrev_b32_e32 v6, 1, v11
	v_lshl_add_u32 v82, v1, 4, v9
	v_lshlrev_b32_e32 v10, 8, v8
	buffer_load_dwordx4 v[6:9], v6, s[0:3], 0 offen
	v_lshlrev_b32_e32 v59, 2, v0
	v_and_b32_e32 v58, 0xc0, v59
	v_lshl_or_b32 v110, v109, 4, v10
	v_lshrrev_b32_e32 v10, 4, v58
	v_add_u32_e32 v15, s7, v11
	v_bitop3_b32 v55, v10, v0, 15 bitop3:0x78
	v_lshlrev_b32_e32 v10, 1, v15
	v_lshlrev_b32_e32 v14, 8, v1
	buffer_load_dwordx4 v[10:13], v10, s[0:3], 0 offen
	v_add_u32_e32 v18, s7, v15
	v_lshl_or_b32 v56, v55, 4, v14
	v_lshlrev_b32_e32 v14, 1, v18
	v_add_u32_e32 v18, s7, v18
	v_lshlrev_b32_e32 v26, 1, v18
	v_add_u32_e32 v27, s7, v18
	buffer_load_dwordx4 v[14:17], v14, s[0:3], 0 offen
	v_lshlrev_b32_e32 v28, 1, v27
	buffer_load_dwordx4 v[18:21], v26, s[0:3], 0 offen
	buffer_load_dwordx4 v[22:25], v28, s[0:3], 0 offen
	v_add_u32_e32 v26, s7, v27
	v_lshlrev_b32_e32 v34, 1, v26
	v_add_u32_e32 v35, s7, v26
	v_lshlrev_b32_e32 v36, 1, v35
	buffer_load_dwordx4 v[26:29], v34, s[0:3], 0 offen
	buffer_load_dwordx4 v[30:33], v36, s[0:3], 0 offen
	v_add_u32_e32 v34, s7, v35
	v_lshlrev_b32_e32 v42, 1, v34
	v_add_u32_e32 v43, s7, v34
	;; [unrolled: 6-line block ×4, first 2 shown]
	v_lshlrev_b32_e32 v68, 1, v67
	buffer_load_dwordx4 v[50:53], v66, s[0:3], 0 offen
	buffer_load_dwordx4 v[62:65], v68, s[0:3], 0 offen
	v_add_u32_e32 v66, s7, v67
	v_lshlrev_b32_e32 v74, 1, v66
	v_add_lshl_u32 v75, v66, s7, 1
	buffer_load_dwordx4 v[66:69], v74, s[0:3], 0 offen
	buffer_load_dwordx4 v[70:73], v75, s[0:3], 0 offen
	s_add_u32 s0, 0, 0
	s_addc_u32 s22, s15, s16
	s_and_b32 s21, s18, 0xffff
	s_mov_b32 s23, s3
	v_add_u32_e32 v83, s8, v82
	buffer_load_dwordx4 v[74:77], v82, s[20:23], 0 offen
	buffer_load_dwordx4 v[78:81], v83, s[20:23], 0 offen
	v_add_u32_e32 v90, s8, v83
	v_add_u32_e32 v91, s8, v90
	buffer_load_dwordx4 v[82:85], v90, s[20:23], 0 offen
	buffer_load_dwordx4 v[86:89], v91, s[20:23], 0 offen
	v_add_u32_e32 v98, s8, v91
	;; [unrolled: 4-line block ×3, first 2 shown]
	v_add_u32_e32 v112, s8, v111
	buffer_load_dwordx4 v[98:101], v111, s[20:23], 0 offen
	buffer_load_dwordx4 v[102:105], v112, s[20:23], 0 offen
	v_lshlrev_b32_e32 v111, 1, v107
	s_movk_i32 s0, 0x200
	v_lshrrev_b32_e32 v61, 3, v58
	v_bitop3_b32 v60, v0, v61, 15 bitop3:0x6c
	v_or_b32_e32 v115, 5, v61
	v_or_b32_e32 v124, 7, v61
	s_waitcnt vmcnt(23)
	ds_write_b128 v111, v[2:5]
	v_bitop3_b32 v2, v57, v54, 1 bitop3:0x36
	v_sub_u32_e32 v3, v2, v106
	v_lshlrev_b32_e32 v4, 3, v3
	v_bitop3_b32 v5, v57, v54, 2 bitop3:0x36
	v_lshl_add_u32 v3, v3, 4, v111
	v_sub_u32_e32 v2, v5, v2
	v_lshlrev_b32_e32 v106, 3, v2
	v_add3_u32 v4, v4, v107, v106
	v_lshlrev_b32_e32 v2, 4, v2
	v_add3_u32 v2, v3, s0, v2
	s_waitcnt vmcnt(22)
	ds_write_b128 v3, v[6:9] offset:512
	v_bitop3_b32 v6, v57, v54, 3 bitop3:0x36
	v_bitop3_b32 v8, v57, v54, 4 bitop3:0x36
	v_sub_u32_e32 v5, v6, v5
	v_sub_u32_e32 v6, v8, v6
	v_lshlrev_b32_e32 v7, 3, v5
	v_lshlrev_b32_e32 v9, 3, v6
	v_add3_u32 v4, v4, v7, v9
	v_bitop3_b32 v3, v57, v54, 5 bitop3:0x36
	v_bitop3_b32 v9, v57, v54, 6 bitop3:0x36
	v_sub_u32_e32 v7, v3, v8
	v_sub_u32_e32 v3, v9, v3
	s_waitcnt vmcnt(21)
	ds_write_b128 v2, v[10:13] offset:512
	v_lshlrev_b32_e32 v8, 3, v7
	v_lshlrev_b32_e32 v10, 3, v3
	;; [unrolled: 1-line block ×3, first 2 shown]
	v_add3_u32 v4, v4, v8, v10
	v_add3_u32 v2, v2, s0, v5
	v_bitop3_b32 v5, v57, v54, 7 bitop3:0x36
	v_bitop3_b32 v10, v57, v54, 8 bitop3:0x36
	v_sub_u32_e32 v8, v5, v9
	v_sub_u32_e32 v5, v10, v5
	v_lshlrev_b32_e32 v6, 4, v6
	s_waitcnt vmcnt(20)
	ds_write_b128 v2, v[14:17] offset:512
	v_lshlrev_b32_e32 v9, 3, v8
	v_lshlrev_b32_e32 v11, 3, v5
	v_add3_u32 v2, v2, s0, v6
	v_lshlrev_b32_e32 v7, 4, v7
	v_add3_u32 v4, v4, v9, v11
	s_waitcnt vmcnt(19)
	ds_write_b128 v2, v[18:21] offset:512
	v_bitop3_b32 v6, v57, v54, 9 bitop3:0x36
	v_bitop3_b32 v11, v57, v54, 10 bitop3:0x36
	v_add3_u32 v2, v2, s0, v7
	v_lshlrev_b32_e32 v3, 4, v3
	v_sub_u32_e32 v9, v6, v10
	v_sub_u32_e32 v6, v11, v6
	s_waitcnt vmcnt(18)
	ds_write_b128 v2, v[22:25] offset:512
	v_add3_u32 v2, v2, s0, v3
	v_lshlrev_b32_e32 v8, 4, v8
	v_lshlrev_b32_e32 v10, 3, v9
	;; [unrolled: 1-line block ×3, first 2 shown]
	s_waitcnt vmcnt(17)
	ds_write_b128 v2, v[26:29] offset:512
	v_add3_u32 v2, v2, s0, v8
	v_lshlrev_b32_e32 v5, 4, v5
	v_add3_u32 v4, v4, v10, v12
	v_bitop3_b32 v7, v57, v54, 11 bitop3:0x36
	v_bitop3_b32 v12, v57, v54, 12 bitop3:0x36
	s_waitcnt vmcnt(16)
	ds_write_b128 v2, v[30:33] offset:512
	v_add3_u32 v2, v2, s0, v5
	v_lshlrev_b32_e32 v5, 4, v9
	v_sub_u32_e32 v10, v7, v11
	v_sub_u32_e32 v7, v12, v7
	s_waitcnt vmcnt(15)
	ds_write_b128 v2, v[34:37] offset:512
	v_add3_u32 v2, v2, s0, v5
	v_lshlrev_b32_e32 v5, 4, v6
	v_lshlrev_b32_e32 v11, 3, v10
	;; [unrolled: 1-line block ×3, first 2 shown]
	v_bitop3_b32 v3, v57, v54, 13 bitop3:0x36
	s_waitcnt vmcnt(14)
	ds_write_b128 v2, v[38:41] offset:512
	v_add3_u32 v2, v2, s0, v5
	v_lshlrev_b32_e32 v5, 4, v10
	v_add3_u32 v4, v4, v11, v13
	v_sub_u32_e32 v11, v3, v12
	v_bitop3_b32 v13, v57, v54, 14 bitop3:0x36
	s_waitcnt vmcnt(13)
	ds_write_b128 v2, v[42:45] offset:512
	v_add3_u32 v2, v2, s0, v5
	v_lshlrev_b32_e32 v5, 4, v7
	v_sub_u32_e32 v3, v13, v3
	v_bitop3_b32 v8, v57, v54, 15 bitop3:0x36
	s_waitcnt vmcnt(12)
	ds_write_b128 v2, v[46:49] offset:512
	v_add3_u32 v2, v2, s0, v5
	v_lshlrev_b32_e32 v5, 4, v11
	v_lshlrev_b32_e32 v12, 3, v11
	;; [unrolled: 1-line block ×3, first 2 shown]
	v_sub_u32_e32 v8, v8, v13
	s_waitcnt vmcnt(11)
	ds_write_b128 v2, v[50:53] offset:512
	v_add3_u32 v2, v2, s0, v5
	v_lshlrev_b32_e32 v3, 4, v3
	v_add3_u32 v4, v4, v12, v14
	v_lshlrev_b32_e32 v8, 4, v8
	s_waitcnt vmcnt(10)
	ds_write_b128 v2, v[62:65] offset:512
	v_add3_u32 v2, v2, s0, v3
	v_lshl_add_u32 v4, v4, 1, v8
	s_waitcnt vmcnt(9)
	ds_write_b128 v2, v[66:69] offset:512
	s_waitcnt vmcnt(8)
	ds_write_b128 v4, v[70:73] offset:7680
	;; [unrolled: 2-line block ×3, first 2 shown]
	v_bitop3_b32 v2, v108, v1, 1 bitop3:0x36
	v_sub_u32_e32 v3, v2, v109
	v_bitop3_b32 v4, v108, v1, 2 bitop3:0x36
	v_lshl_add_u32 v3, v3, 4, v110
	v_sub_u32_e32 v2, v4, v2
	v_lshl_add_u32 v2, v2, 4, v3
	s_waitcnt vmcnt(6)
	ds_write_b128 v3, v[78:81] offset:16640
	v_bitop3_b32 v3, v108, v1, 3 bitop3:0x36
	v_sub_u32_e32 v4, v3, v4
	v_lshlrev_b32_e32 v4, 4, v4
	s_movk_i32 s0, 0x100
	v_add3_u32 v4, v2, s0, v4
	s_waitcnt vmcnt(5)
	ds_write_b128 v2, v[82:85] offset:16896
	v_bitop3_b32 v2, v108, v1, 4 bitop3:0x36
	v_sub_u32_e32 v3, v2, v3
	v_lshlrev_b32_e32 v3, 4, v3
	v_add3_u32 v3, v4, s0, v3
	s_waitcnt vmcnt(4)
	ds_write_b128 v4, v[86:89] offset:16896
	v_bitop3_b32 v4, v108, v1, 5 bitop3:0x36
	v_sub_u32_e32 v2, v4, v2
	v_lshlrev_b32_e32 v2, 4, v2
	;; [unrolled: 6-line block ×3, first 2 shown]
	v_add3_u32 v4, v2, s0, v4
	s_waitcnt vmcnt(2)
	ds_write_b128 v2, v[94:97] offset:16896
	v_bitop3_b32 v2, v108, v1, 7 bitop3:0x36
	v_sub_u32_e32 v2, v2, v3
	v_lshl_add_u32 v2, v2, 4, v4
	s_waitcnt vmcnt(1)
	ds_write_b128 v4, v[98:101] offset:16896
	s_waitcnt vmcnt(0)
	ds_write_b128 v2, v[102:105] offset:17152
	v_lshlrev_b32_e32 v2, 9, v1
	v_lshl_or_b32 v122, v60, 4, v2
	v_bitop3_b32 v2, v61, v1, 1 bitop3:0x36
	v_sub_u32_e32 v2, v2, v60
	v_or_b32_e32 v46, 16, v58
	v_lshl_add_u32 v2, v2, 4, v122
	v_lshrrev_b32_e32 v106, 3, v46
	s_waitcnt lgkmcnt(0)
	; wave barrier
	ds_read_b128 v[22:25], v122
	ds_read_b128 v[18:21], v2
	v_bitop3_b32 v2, v106, v0, 15 bitop3:0x78
	v_bitop3_b32 v3, v61, v1, 3 bitop3:0x36
	v_sub_u32_e32 v2, v2, v60
	v_sub_u32_e32 v3, v3, v60
	v_or_b32_e32 v54, 32, v58
	v_lshl_add_u32 v2, v2, 4, v122
	v_lshl_add_u32 v3, v3, 4, v122
	v_lshrrev_b32_e32 v114, 3, v54
	ds_read_b128 v[14:17], v2
	ds_read_b128 v[10:13], v3
	v_bitop3_b32 v2, v114, v0, 15 bitop3:0x78
	v_bitop3_b32 v3, v61, v1, 5 bitop3:0x36
	v_sub_u32_e32 v2, v2, v60
	v_sub_u32_e32 v3, v3, v60
	v_lshl_add_u32 v2, v2, 4, v122
	v_lshl_add_u32 v3, v3, 4, v122
	ds_read_b128 v[6:9], v2
	ds_read_b128 v[2:5], v3
	ds_read_b128 v[38:41], v56 offset:16384
	ds_read_b128 v[62:65], v56 offset:20480
	v_or_b32_e32 v57, 48, v58
	v_lshrrev_b32_e32 v123, 3, v57
	v_bitop3_b32 v26, v123, v0, 15 bitop3:0x78
	s_waitcnt lgkmcnt(1)
	v_and_b32_e32 v28, 0xffff, v38
	v_cvt_pk_f32_fp8_e32 v[34:35], v28
	v_bitop3_b32 v27, v61, v1, 7 bitop3:0x36
	v_sub_u32_e32 v26, v26, v60
	v_sub_u32_e32 v27, v27, v60
	v_cvt_pkrtz_f16_f32 v34, v34, v35
	v_lshrrev_b32_e32 v35, 16, v38
	v_cvt_pk_f32_fp8_e32 v[36:37], v35
	v_and_b32_e32 v35, 0xffff, v39
	v_cvt_pk_f32_fp8_e32 v[42:43], v35
	v_lshrrev_b32_e32 v35, 16, v39
	v_cvt_pk_f32_fp8_e32 v[38:39], v35
	v_and_b32_e32 v35, 0xffff, v40
	v_cvt_pk_f32_fp8_e32 v[44:45], v35
	v_cvt_pkrtz_f16_f32 v35, v36, v37
	v_cvt_pkrtz_f16_f32 v37, v38, v39
	v_lshrrev_b32_e32 v39, 16, v40
	v_lshrrev_b32_e32 v40, 4, v46
	v_bitop3_b32 v40, v40, v0, 15 bitop3:0x78
	v_sub_u32_e32 v40, v40, v55
	v_lshl_add_u32 v26, v26, 4, v122
	v_lshl_add_u32 v27, v27, 4, v122
	;; [unrolled: 1-line block ×3, first 2 shown]
	ds_read_b128 v[30:33], v26
	ds_read_b128 v[26:29], v27
	ds_read_b128 v[46:49], v40 offset:16384
	ds_read_b128 v[66:69], v40 offset:20480
	v_cvt_pkrtz_f16_f32 v36, v42, v43
	v_cvt_pk_f32_fp8_e32 v[42:43], v39
	v_and_b32_e32 v39, 0xffff, v41
	v_cvt_pkrtz_f16_f32 v38, v44, v45
	v_cvt_pk_f32_fp8_e32 v[44:45], v39
	v_lshrrev_b32_e32 v39, 16, v41
	v_cvt_pk_f32_fp8_e32 v[50:51], v39
	s_waitcnt lgkmcnt(1)
	v_and_b32_e32 v39, 0xffff, v46
	v_cvt_pk_f32_fp8_e32 v[52:53], v39
	v_cvt_pkrtz_f16_f32 v39, v42, v43
	v_lshrrev_b32_e32 v43, 16, v46
	v_cvt_pkrtz_f16_f32 v40, v44, v45
	v_cvt_pk_f32_fp8_e32 v[44:45], v43
	v_and_b32_e32 v43, 0xffff, v47
	v_cvt_pkrtz_f16_f32 v41, v50, v51
	v_cvt_pk_f32_fp8_e32 v[50:51], v43
	v_lshrrev_b32_e32 v43, 16, v47
	v_cvt_pk_f32_fp8_e32 v[46:47], v43
	v_and_b32_e32 v43, 0xffff, v48
	v_cvt_pkrtz_f16_f32 v42, v52, v53
	v_cvt_pk_f32_fp8_e32 v[52:53], v43
	v_cvt_pkrtz_f16_f32 v43, v44, v45
	v_cvt_pkrtz_f16_f32 v45, v46, v47
	v_lshrrev_b32_e32 v47, 16, v48
	v_lshrrev_b32_e32 v48, 4, v54
	v_bitop3_b32 v48, v48, v0, 15 bitop3:0x78
	v_sub_u32_e32 v48, v48, v55
	v_lshl_add_u32 v48, v48, 4, v56
	ds_read_b128 v[70:73], v48 offset:16384
	ds_read_b128 v[74:77], v48 offset:20480
	v_cvt_pkrtz_f16_f32 v44, v50, v51
	v_cvt_pk_f32_fp8_e32 v[50:51], v47
	v_and_b32_e32 v47, 0xffff, v49
	v_cvt_pkrtz_f16_f32 v46, v52, v53
	v_cvt_pk_f32_fp8_e32 v[52:53], v47
	v_lshrrev_b32_e32 v47, 16, v49
	v_cvt_pk_f32_fp8_e32 v[78:79], v47
	s_waitcnt lgkmcnt(1)
	v_and_b32_e32 v47, 0xffff, v70
	v_cvt_pk_f32_fp8_e32 v[80:81], v47
	v_cvt_pkrtz_f16_f32 v47, v50, v51
	v_lshrrev_b32_e32 v51, 16, v70
	v_cvt_pkrtz_f16_f32 v48, v52, v53
	v_cvt_pk_f32_fp8_e32 v[52:53], v51
	v_and_b32_e32 v51, 0xffff, v71
	v_cvt_pkrtz_f16_f32 v49, v78, v79
	v_cvt_pk_f32_fp8_e32 v[78:79], v51
	v_lshrrev_b32_e32 v51, 16, v71
	v_cvt_pk_f32_fp8_e32 v[70:71], v51
	v_and_b32_e32 v51, 0xffff, v72
	v_cvt_pkrtz_f16_f32 v50, v80, v81
	v_cvt_pk_f32_fp8_e32 v[80:81], v51
	v_lshrrev_b32_e32 v57, 4, v57
	v_cvt_pkrtz_f16_f32 v51, v52, v53
	v_cvt_pkrtz_f16_f32 v53, v70, v71
	v_lshrrev_b32_e32 v70, 16, v72
	v_bitop3_b32 v57, v57, v0, 15 bitop3:0x78
	v_cvt_pkrtz_f16_f32 v52, v78, v79
	v_cvt_pk_f32_fp8_e32 v[78:79], v70
	v_and_b32_e32 v70, 0xffff, v73
	v_sub_u32_e32 v55, v57, v55
	v_cvt_pkrtz_f16_f32 v54, v80, v81
	v_cvt_pk_f32_fp8_e32 v[80:81], v70
	v_lshrrev_b32_e32 v70, 16, v73
	v_lshl_add_u32 v84, v55, 4, v56
	v_cvt_pk_f32_fp8_e32 v[82:83], v70
	ds_read_b128 v[70:73], v84 offset:16384
	v_cvt_pkrtz_f16_f32 v55, v78, v79
	v_cvt_pkrtz_f16_f32 v56, v80, v81
	v_cvt_pkrtz_f16_f32 v57, v82, v83
	ds_read_b128 v[78:81], v84 offset:20480
	s_waitcnt lgkmcnt(1)
	v_and_b32_e32 v82, 0xffff, v70
	v_lshrrev_b32_e32 v70, 16, v70
	v_cvt_pk_f32_fp8_e32 v[84:85], v70
	v_and_b32_e32 v70, 0xffff, v71
	v_cvt_pk_f32_fp8_e32 v[86:87], v70
	v_lshrrev_b32_e32 v70, 16, v71
	v_cvt_pk_f32_fp8_e32 v[82:83], v82
	v_cvt_pk_f32_fp8_e32 v[70:71], v70
	v_or_b32_e32 v104, 1, v61
	v_or_b32_e32 v107, 3, v61
	v_cvt_pkrtz_f16_f32 v82, v82, v83
	v_cvt_pkrtz_f16_f32 v83, v84, v85
	;; [unrolled: 1-line block ×3, first 2 shown]
	v_and_b32_e32 v70, 0xffff, v72
	v_lshrrev_b32_e32 v72, 16, v72
	v_cvt_pkrtz_f16_f32 v84, v86, v87
	v_cvt_pk_f32_fp8_e32 v[70:71], v70
	v_cvt_pk_f32_fp8_e32 v[86:87], v72
	v_and_b32_e32 v72, 0xffff, v73
	v_cvt_pk_f32_fp8_e32 v[88:89], v72
	v_lshrrev_b32_e32 v72, 16, v73
	v_cvt_pk_f32_fp8_e32 v[90:91], v72
	v_cvt_pkrtz_f16_f32 v70, v70, v71
	v_cvt_pkrtz_f16_f32 v71, v86, v87
	v_and_b32_e32 v86, 0xffff, v62
	v_lshrrev_b32_e32 v62, 16, v62
	v_cvt_pkrtz_f16_f32 v72, v88, v89
	v_cvt_pk_f32_fp8_e32 v[88:89], v62
	v_and_b32_e32 v62, 0xffff, v63
	v_cvt_pkrtz_f16_f32 v73, v90, v91
	v_cvt_pk_f32_fp8_e32 v[90:91], v62
	v_lshrrev_b32_e32 v62, 16, v63
	v_cvt_pk_f32_fp8_e32 v[86:87], v86
	v_cvt_pk_f32_fp8_e32 v[62:63], v62
	v_bitop3_b32 v61, v1, v61, 16 bitop3:0x36
	v_sub_u32_e32 v61, v61, v60
	v_cvt_pkrtz_f16_f32 v86, v86, v87
	v_cvt_pkrtz_f16_f32 v87, v88, v89
	;; [unrolled: 1-line block ×3, first 2 shown]
	v_and_b32_e32 v62, 0xffff, v64
	v_lshrrev_b32_e32 v64, 16, v64
	v_cvt_pkrtz_f16_f32 v88, v90, v91
	v_cvt_pk_f32_fp8_e32 v[62:63], v62
	v_cvt_pk_f32_fp8_e32 v[90:91], v64
	v_and_b32_e32 v64, 0xffff, v65
	v_cvt_pk_f32_fp8_e32 v[92:93], v64
	v_lshrrev_b32_e32 v64, 16, v65
	v_cvt_pk_f32_fp8_e32 v[94:95], v64
	v_cvt_pkrtz_f16_f32 v62, v62, v63
	v_cvt_pkrtz_f16_f32 v63, v90, v91
	v_and_b32_e32 v90, 0xffff, v66
	v_lshrrev_b32_e32 v66, 16, v66
	v_cvt_pkrtz_f16_f32 v64, v92, v93
	v_cvt_pk_f32_fp8_e32 v[92:93], v66
	v_and_b32_e32 v66, 0xffff, v67
	v_cvt_pkrtz_f16_f32 v65, v94, v95
	v_cvt_pk_f32_fp8_e32 v[94:95], v66
	v_lshrrev_b32_e32 v66, 16, v67
	v_cvt_pk_f32_fp8_e32 v[90:91], v90
	v_cvt_pk_f32_fp8_e32 v[66:67], v66
	v_lshl_add_u32 v61, v61, 4, v122
	v_cvt_pkrtz_f16_f32 v90, v90, v91
	v_cvt_pkrtz_f16_f32 v91, v92, v93
	;; [unrolled: 1-line block ×3, first 2 shown]
	v_and_b32_e32 v66, 0xffff, v68
	v_lshrrev_b32_e32 v68, 16, v68
	v_cvt_pkrtz_f16_f32 v92, v94, v95
	v_cvt_pk_f32_fp8_e32 v[66:67], v66
	v_cvt_pk_f32_fp8_e32 v[94:95], v68
	v_and_b32_e32 v68, 0xffff, v69
	v_cvt_pk_f32_fp8_e32 v[96:97], v68
	v_lshrrev_b32_e32 v68, 16, v69
	v_cvt_pk_f32_fp8_e32 v[98:99], v68
	v_cvt_pkrtz_f16_f32 v66, v66, v67
	v_cvt_pkrtz_f16_f32 v67, v94, v95
	v_and_b32_e32 v94, 0xffff, v74
	v_lshrrev_b32_e32 v74, 16, v74
	v_cvt_pkrtz_f16_f32 v68, v96, v97
	v_cvt_pk_f32_fp8_e32 v[96:97], v74
	v_and_b32_e32 v74, 0xffff, v75
	v_cvt_pkrtz_f16_f32 v69, v98, v99
	v_cvt_pk_f32_fp8_e32 v[98:99], v74
	v_lshrrev_b32_e32 v74, 16, v75
	v_cvt_pk_f32_fp8_e32 v[94:95], v94
	v_cvt_pk_f32_fp8_e32 v[74:75], v74
	v_cvt_pkrtz_f16_f32 v94, v94, v95
	v_cvt_pkrtz_f16_f32 v95, v96, v97
	;; [unrolled: 1-line block ×3, first 2 shown]
	v_and_b32_e32 v74, 0xffff, v76
	v_lshrrev_b32_e32 v76, 16, v76
	v_cvt_pkrtz_f16_f32 v96, v98, v99
	v_cvt_pk_f32_fp8_e32 v[74:75], v74
	v_cvt_pk_f32_fp8_e32 v[98:99], v76
	v_and_b32_e32 v76, 0xffff, v77
	v_cvt_pk_f32_fp8_e32 v[100:101], v76
	v_lshrrev_b32_e32 v76, 16, v77
	v_cvt_pk_f32_fp8_e32 v[102:103], v76
	v_cvt_pkrtz_f16_f32 v74, v74, v75
	v_cvt_pkrtz_f16_f32 v75, v98, v99
	s_waitcnt lgkmcnt(0)
	v_and_b32_e32 v98, 0xffff, v78
	v_lshrrev_b32_e32 v78, 16, v78
	v_cvt_pkrtz_f16_f32 v76, v100, v101
	v_cvt_pk_f32_fp8_e32 v[100:101], v78
	v_and_b32_e32 v78, 0xffff, v79
	v_cvt_pkrtz_f16_f32 v77, v102, v103
	v_cvt_pk_f32_fp8_e32 v[102:103], v78
	v_lshrrev_b32_e32 v78, 16, v79
	v_cvt_pk_f32_fp8_e32 v[98:99], v98
	v_cvt_pk_f32_fp8_e32 v[78:79], v78
	v_cvt_pkrtz_f16_f32 v98, v98, v99
	v_cvt_pkrtz_f16_f32 v99, v100, v101
	;; [unrolled: 1-line block ×3, first 2 shown]
	v_and_b32_e32 v78, 0xffff, v80
	v_cvt_pk_f32_fp8_e32 v[130:131], v78
	v_lshrrev_b32_e32 v78, 16, v80
	v_cvt_pk_f32_fp8_e32 v[132:133], v78
	v_and_b32_e32 v78, 0xffff, v81
	v_cvt_pk_f32_fp8_e32 v[134:135], v78
	v_lshrrev_b32_e32 v78, 16, v81
	v_cvt_pk_f32_fp8_e32 v[136:137], v78
	v_bitop3_b32 v78, v1, v104, 16 bitop3:0x36
	v_sub_u32_e32 v78, v78, v60
	v_cvt_pkrtz_f16_f32 v100, v102, v103
	v_lshl_add_u32 v102, v78, 4, v122
	ds_read_b128 v[78:81], v61 offset:8192
	ds_read_b128 v[102:105], v102 offset:8192
	v_bitop3_b32 v61, v1, v106, 16 bitop3:0x36
	v_bitop3_b32 v106, v1, v107, 16 bitop3:0x36
	v_sub_u32_e32 v61, v61, v60
	v_sub_u32_e32 v106, v106, v60
	v_lshl_add_u32 v61, v61, 4, v122
	v_lshl_add_u32 v110, v106, 4, v122
	ds_read_b128 v[106:109], v61 offset:8192
	ds_read_b128 v[110:113], v110 offset:8192
	v_bitop3_b32 v61, v1, v114, 16 bitop3:0x36
	v_bitop3_b32 v114, v1, v115, 16 bitop3:0x36
	v_sub_u32_e32 v61, v61, v60
	v_sub_u32_e32 v114, v114, v60
	v_lshl_add_u32 v61, v61, 4, v122
	v_lshl_add_u32 v118, v114, 4, v122
	ds_read_b128 v[114:117], v61 offset:8192
	ds_read_b128 v[118:121], v118 offset:8192
	v_bitop3_b32 v61, v1, v123, 16 bitop3:0x36
	v_sub_u32_e32 v61, v61, v60
	v_bitop3_b32 v123, v1, v124, 16 bitop3:0x36
	v_lshl_add_u32 v61, v61, 4, v122
	v_sub_u32_e32 v60, v123, v60
	v_lshl_add_u32 v60, v60, 4, v122
	ds_read_b128 v[122:125], v61 offset:8192
	ds_read_b128 v[126:129], v60 offset:8192
	v_cvt_pkrtz_f16_f32 v130, v130, v131
	v_cvt_pkrtz_f16_f32 v131, v132, v133
	;; [unrolled: 1-line block ×4, first 2 shown]
	; sched_barrier mask(0x00000000)
	; wave barrier
	; sched_barrier mask(0x00000000)
	v_mfma_f32_16x16x32_f16 v[134:137], v[22:25], v[34:37], 0
	v_mfma_f32_16x16x32_f16 v[134:137], v[18:21], v[38:41], v[134:137]
	; sched_barrier mask(0x00000000)
	s_setprio 1
	; sched_barrier mask(0x00000000)
	v_mfma_f32_16x16x32_f16 v[22:25], v[22:25], v[86:89], 0
	v_mfma_f32_16x16x32_f16 v[18:21], v[18:21], v[62:65], v[22:25]
	s_waitcnt lgkmcnt(7)
	v_mfma_f32_16x16x32_f16 v[22:25], v[78:81], v[34:37], 0
	s_waitcnt lgkmcnt(6)
	v_mfma_f32_16x16x32_f16 v[22:25], v[102:105], v[38:41], v[22:25]
	v_mfma_f32_16x16x32_f16 v[38:41], v[14:17], v[42:45], v[134:137]
	;; [unrolled: 1-line block ×6, first 2 shown]
	s_waitcnt lgkmcnt(5)
	v_mfma_f32_16x16x32_f16 v[14:17], v[106:109], v[42:45], v[22:25]
	v_mfma_f32_16x16x32_f16 v[34:37], v[102:105], v[62:65], v[34:37]
	s_waitcnt lgkmcnt(4)
	v_mfma_f32_16x16x32_f16 v[14:17], v[110:113], v[46:49], v[14:17]
	v_mfma_f32_16x16x32_f16 v[22:25], v[6:9], v[50:53], v[38:41]
	v_mfma_f32_16x16x32_f16 v[6:9], v[6:9], v[94:97], v[10:13]
	v_mfma_f32_16x16x32_f16 v[18:21], v[106:109], v[90:93], v[34:37]
	v_mfma_f32_16x16x32_f16 v[22:25], v[2:5], v[54:57], v[22:25]
	v_mfma_f32_16x16x32_f16 v[2:5], v[2:5], v[74:77], v[6:9]
	s_waitcnt lgkmcnt(3)
	v_mfma_f32_16x16x32_f16 v[6:9], v[114:117], v[50:53], v[14:17]
	v_mfma_f32_16x16x32_f16 v[18:21], v[110:113], v[66:69], v[18:21]
	s_waitcnt lgkmcnt(2)
	v_mfma_f32_16x16x32_f16 v[6:9], v[118:121], v[54:57], v[6:9]
	v_mfma_f32_16x16x32_f16 v[10:13], v[114:117], v[94:97], v[18:21]
	v_mfma_f32_16x16x32_f16 v[14:17], v[30:33], v[82:85], v[22:25]
	v_mfma_f32_16x16x32_f16 v[2:5], v[30:33], v[98:101], v[2:5]
	s_waitcnt lgkmcnt(1)
	v_mfma_f32_16x16x32_f16 v[6:9], v[122:125], v[82:85], v[6:9]
	v_mfma_f32_16x16x32_f16 v[10:13], v[118:121], v[74:77], v[10:13]
	;; [unrolled: 1-line block ×4, first 2 shown]
	s_waitcnt lgkmcnt(0)
	v_mfma_f32_16x16x32_f16 v[6:9], v[126:129], v[70:73], v[6:9]
	; sched_barrier mask(0x00000000)
	s_waitcnt lgkmcnt(0)
	; wave barrier
	; sched_barrier mask(0x00000000)
	v_mfma_f32_16x16x32_f16 v[10:13], v[122:125], v[98:101], v[10:13]
	v_mfma_f32_16x16x32_f16 v[10:13], v[126:129], v[130:133], v[10:13]
	; sched_barrier mask(0x00000000)
	s_setprio 0
	; sched_barrier mask(0x00000000)
	v_lshrrev_b32_e32 v20, 2, v0
	v_and_b32_e32 v21, 12, v59
	v_or_b32_e32 v0, s13, v21
	v_or_b32_e32 v22, s10, v20
	v_mad_u64_u32 v[18:19], s[0:1], v22, s9, v[0:1]
	v_cvt_f16_f32_e32 v14, v14
	v_or_b32_e32 v1, v58, v1
	v_lshlrev_b32_e32 v19, 1, v1
	v_cvt_f16_f32_e32 v1, v15
	v_cvt_f16_f32_e32 v15, v16
	;; [unrolled: 1-line block ×3, first 2 shown]
	s_waitcnt lgkmcnt(0)
	; wave barrier
	ds_write_b16 v19, v14
	ds_write_b16 v19, v1 offset:32
	ds_write_b16 v19, v15 offset:64
	;; [unrolled: 1-line block ×3, first 2 shown]
	v_lshlrev_b32_e32 v1, 1, v21
	v_lshl_or_b32 v16, v20, 5, v1
	s_waitcnt lgkmcnt(0)
	; wave barrier
	ds_read_b64 v[14:15], v16
	v_cmp_gt_i32_e32 vcc, s5, v0
	v_cmp_gt_i32_e64 s[0:1], s4, v22
	s_add_i32 s2, s5, s6
	s_lshl_b32 s14, s2, 1
	s_mov_b32 s15, s3
	v_bfrev_b32_e32 v17, 1
	s_and_b64 s[2:3], s[0:1], vcc
	v_cndmask_b32_e64 v1, v17, 0, s[2:3]
	s_and_b32 s13, s11, 0xffff
	v_lshl_add_u32 v1, v18, 1, v1
	s_waitcnt lgkmcnt(0)
	buffer_store_dwordx2 v[14:15], v1, s[12:15], 0 offen
	v_or_b32_e32 v14, 16, v0
	v_cvt_f16_f32_e32 v0, v2
	v_cvt_f16_f32_e32 v1, v3
	;; [unrolled: 1-line block ×4, first 2 shown]
	s_waitcnt lgkmcnt(0)
	; wave barrier
	ds_write_b16 v19, v0
	ds_write_b16 v19, v1 offset:32
	ds_write_b16 v19, v2 offset:64
	ds_write_b16 v19, v3 offset:96
	s_waitcnt lgkmcnt(0)
	; wave barrier
	ds_read_b64 v[0:1], v16
	v_cmp_gt_i32_e64 s[2:3], s5, v14
	s_and_b64 s[0:1], s[0:1], s[2:3]
	v_add_u32_e32 v15, 16, v18
	v_cndmask_b32_e64 v2, v17, 0, s[0:1]
	v_lshl_add_u32 v2, v15, 1, v2
	s_waitcnt lgkmcnt(0)
	buffer_store_dwordx2 v[0:1], v2, s[12:15], 0 offen
	v_cvt_f16_f32_e32 v0, v10
	v_cvt_f16_f32_e32 v1, v11
	;; [unrolled: 1-line block ×4, first 2 shown]
	v_or_b32_e32 v2, 16, v22
	s_waitcnt lgkmcnt(0)
	; wave barrier
	ds_write_b16 v19, v0
	ds_write_b16 v19, v1 offset:32
	ds_write_b16 v19, v4 offset:64
	;; [unrolled: 1-line block ×3, first 2 shown]
	s_waitcnt lgkmcnt(0)
	; wave barrier
	ds_read_b64 v[0:1], v16
	v_cmp_gt_i32_e64 s[0:1], s4, v2
	s_lshl_b32 s5, s9, 4
	s_and_b64 s[2:3], s[0:1], s[2:3]
	v_add_u32_e32 v3, s5, v15
	v_cndmask_b32_e64 v2, v17, 0, s[2:3]
	v_lshl_add_u32 v2, v3, 1, v2
	s_waitcnt lgkmcnt(0)
	buffer_store_dwordx2 v[0:1], v2, s[12:15], 0 offen
	v_cvt_f16_f32_e32 v0, v6
	v_cvt_f16_f32_e32 v1, v7
	;; [unrolled: 1-line block ×4, first 2 shown]
	s_waitcnt lgkmcnt(0)
	; wave barrier
	ds_write_b16 v19, v0
	ds_write_b16 v19, v1 offset:32
	ds_write_b16 v19, v2 offset:64
	;; [unrolled: 1-line block ×3, first 2 shown]
	s_waitcnt lgkmcnt(0)
	; wave barrier
	ds_read_b64 v[0:1], v16
	s_and_b64 s[0:1], vcc, s[0:1]
	v_add_u32_e32 v2, s5, v18
	v_cndmask_b32_e64 v3, v17, 0, s[0:1]
	v_lshl_add_u32 v2, v2, 1, v3
	s_waitcnt lgkmcnt(0)
	buffer_store_dwordx2 v[0:1], v2, s[12:15], 0 offen
	s_endpgm
	.section	.rodata,"a",@progbits
	.p2align	6, 0x0
	.amdhsa_kernel _ZN2ck27kernel_gemm_xdl_cshuffle_v3INS_28GridwiseGemm_xdl_cshuffle_v3INS_13tensor_layout4gemm8RowMajorENS3_11ColumnMajorES4_DF16_NS_9f8_fnuz_tEfDF16_DF16_NS_16tensor_operation12element_wise11PassThroughES9_S9_LNS7_6device18GemmSpecializationE0ELi64ELi32ELi32ELi256ELi8ELi16ELi16ELi16ELi2ELi2ENS_8SequenceIJLi32ELi2ELi1EEEENSC_IJLi1ELi0ELi2EEEESE_Li2ELi8ELi8ELb0ELi0ENSC_IJLi16ELi4ELi1EEEESE_SE_Li2ELi16ELi16ELb0ELi0ELi1ELi1ENSC_IJLi1ELi16ELi1ELi4EEEELi4ELNS_26BlockGemmPipelineSchedulerE1ELNS_24BlockGemmPipelineVersionE0EDF16_DF16_Lb0ELb0ELb0ELi0ELb0EEELb0ELNS_25InMemoryDataOperationEnumE0ELi2ELNS_10TailNumberE10EEEvNT_8ArgumentE
		.amdhsa_group_segment_fixed_size 24576
		.amdhsa_private_segment_fixed_size 0
		.amdhsa_kernarg_size 112
		.amdhsa_user_sgpr_count 2
		.amdhsa_user_sgpr_dispatch_ptr 0
		.amdhsa_user_sgpr_queue_ptr 0
		.amdhsa_user_sgpr_kernarg_segment_ptr 1
		.amdhsa_user_sgpr_dispatch_id 0
		.amdhsa_user_sgpr_kernarg_preload_length 0
		.amdhsa_user_sgpr_kernarg_preload_offset 0
		.amdhsa_user_sgpr_private_segment_size 0
		.amdhsa_uses_dynamic_stack 0
		.amdhsa_enable_private_segment 0
		.amdhsa_system_sgpr_workgroup_id_x 1
		.amdhsa_system_sgpr_workgroup_id_y 0
		.amdhsa_system_sgpr_workgroup_id_z 1
		.amdhsa_system_sgpr_workgroup_info 0
		.amdhsa_system_vgpr_workitem_id 0
		.amdhsa_next_free_vgpr 169
		.amdhsa_next_free_sgpr 96
		.amdhsa_accum_offset 140
		.amdhsa_reserve_vcc 1
		.amdhsa_float_round_mode_32 0
		.amdhsa_float_round_mode_16_64 0
		.amdhsa_float_denorm_mode_32 3
		.amdhsa_float_denorm_mode_16_64 3
		.amdhsa_dx10_clamp 1
		.amdhsa_ieee_mode 1
		.amdhsa_fp16_overflow 0
		.amdhsa_tg_split 0
		.amdhsa_exception_fp_ieee_invalid_op 0
		.amdhsa_exception_fp_denorm_src 0
		.amdhsa_exception_fp_ieee_div_zero 0
		.amdhsa_exception_fp_ieee_overflow 0
		.amdhsa_exception_fp_ieee_underflow 0
		.amdhsa_exception_fp_ieee_inexact 0
		.amdhsa_exception_int_div_zero 0
	.end_amdhsa_kernel
	.section	.text._ZN2ck27kernel_gemm_xdl_cshuffle_v3INS_28GridwiseGemm_xdl_cshuffle_v3INS_13tensor_layout4gemm8RowMajorENS3_11ColumnMajorES4_DF16_NS_9f8_fnuz_tEfDF16_DF16_NS_16tensor_operation12element_wise11PassThroughES9_S9_LNS7_6device18GemmSpecializationE0ELi64ELi32ELi32ELi256ELi8ELi16ELi16ELi16ELi2ELi2ENS_8SequenceIJLi32ELi2ELi1EEEENSC_IJLi1ELi0ELi2EEEESE_Li2ELi8ELi8ELb0ELi0ENSC_IJLi16ELi4ELi1EEEESE_SE_Li2ELi16ELi16ELb0ELi0ELi1ELi1ENSC_IJLi1ELi16ELi1ELi4EEEELi4ELNS_26BlockGemmPipelineSchedulerE1ELNS_24BlockGemmPipelineVersionE0EDF16_DF16_Lb0ELb0ELb0ELi0ELb0EEELb0ELNS_25InMemoryDataOperationEnumE0ELi2ELNS_10TailNumberE10EEEvNT_8ArgumentE,"axG",@progbits,_ZN2ck27kernel_gemm_xdl_cshuffle_v3INS_28GridwiseGemm_xdl_cshuffle_v3INS_13tensor_layout4gemm8RowMajorENS3_11ColumnMajorES4_DF16_NS_9f8_fnuz_tEfDF16_DF16_NS_16tensor_operation12element_wise11PassThroughES9_S9_LNS7_6device18GemmSpecializationE0ELi64ELi32ELi32ELi256ELi8ELi16ELi16ELi16ELi2ELi2ENS_8SequenceIJLi32ELi2ELi1EEEENSC_IJLi1ELi0ELi2EEEESE_Li2ELi8ELi8ELb0ELi0ENSC_IJLi16ELi4ELi1EEEESE_SE_Li2ELi16ELi16ELb0ELi0ELi1ELi1ENSC_IJLi1ELi16ELi1ELi4EEEELi4ELNS_26BlockGemmPipelineSchedulerE1ELNS_24BlockGemmPipelineVersionE0EDF16_DF16_Lb0ELb0ELb0ELi0ELb0EEELb0ELNS_25InMemoryDataOperationEnumE0ELi2ELNS_10TailNumberE10EEEvNT_8ArgumentE,comdat
.Lfunc_end4:
	.size	_ZN2ck27kernel_gemm_xdl_cshuffle_v3INS_28GridwiseGemm_xdl_cshuffle_v3INS_13tensor_layout4gemm8RowMajorENS3_11ColumnMajorES4_DF16_NS_9f8_fnuz_tEfDF16_DF16_NS_16tensor_operation12element_wise11PassThroughES9_S9_LNS7_6device18GemmSpecializationE0ELi64ELi32ELi32ELi256ELi8ELi16ELi16ELi16ELi2ELi2ENS_8SequenceIJLi32ELi2ELi1EEEENSC_IJLi1ELi0ELi2EEEESE_Li2ELi8ELi8ELb0ELi0ENSC_IJLi16ELi4ELi1EEEESE_SE_Li2ELi16ELi16ELb0ELi0ELi1ELi1ENSC_IJLi1ELi16ELi1ELi4EEEELi4ELNS_26BlockGemmPipelineSchedulerE1ELNS_24BlockGemmPipelineVersionE0EDF16_DF16_Lb0ELb0ELb0ELi0ELb0EEELb0ELNS_25InMemoryDataOperationEnumE0ELi2ELNS_10TailNumberE10EEEvNT_8ArgumentE, .Lfunc_end4-_ZN2ck27kernel_gemm_xdl_cshuffle_v3INS_28GridwiseGemm_xdl_cshuffle_v3INS_13tensor_layout4gemm8RowMajorENS3_11ColumnMajorES4_DF16_NS_9f8_fnuz_tEfDF16_DF16_NS_16tensor_operation12element_wise11PassThroughES9_S9_LNS7_6device18GemmSpecializationE0ELi64ELi32ELi32ELi256ELi8ELi16ELi16ELi16ELi2ELi2ENS_8SequenceIJLi32ELi2ELi1EEEENSC_IJLi1ELi0ELi2EEEESE_Li2ELi8ELi8ELb0ELi0ENSC_IJLi16ELi4ELi1EEEESE_SE_Li2ELi16ELi16ELb0ELi0ELi1ELi1ENSC_IJLi1ELi16ELi1ELi4EEEELi4ELNS_26BlockGemmPipelineSchedulerE1ELNS_24BlockGemmPipelineVersionE0EDF16_DF16_Lb0ELb0ELb0ELi0ELb0EEELb0ELNS_25InMemoryDataOperationEnumE0ELi2ELNS_10TailNumberE10EEEvNT_8ArgumentE
                                        ; -- End function
	.set _ZN2ck27kernel_gemm_xdl_cshuffle_v3INS_28GridwiseGemm_xdl_cshuffle_v3INS_13tensor_layout4gemm8RowMajorENS3_11ColumnMajorES4_DF16_NS_9f8_fnuz_tEfDF16_DF16_NS_16tensor_operation12element_wise11PassThroughES9_S9_LNS7_6device18GemmSpecializationE0ELi64ELi32ELi32ELi256ELi8ELi16ELi16ELi16ELi2ELi2ENS_8SequenceIJLi32ELi2ELi1EEEENSC_IJLi1ELi0ELi2EEEESE_Li2ELi8ELi8ELb0ELi0ENSC_IJLi16ELi4ELi1EEEESE_SE_Li2ELi16ELi16ELb0ELi0ELi1ELi1ENSC_IJLi1ELi16ELi1ELi4EEEELi4ELNS_26BlockGemmPipelineSchedulerE1ELNS_24BlockGemmPipelineVersionE0EDF16_DF16_Lb0ELb0ELb0ELi0ELb0EEELb0ELNS_25InMemoryDataOperationEnumE0ELi2ELNS_10TailNumberE10EEEvNT_8ArgumentE.num_vgpr, 138
	.set _ZN2ck27kernel_gemm_xdl_cshuffle_v3INS_28GridwiseGemm_xdl_cshuffle_v3INS_13tensor_layout4gemm8RowMajorENS3_11ColumnMajorES4_DF16_NS_9f8_fnuz_tEfDF16_DF16_NS_16tensor_operation12element_wise11PassThroughES9_S9_LNS7_6device18GemmSpecializationE0ELi64ELi32ELi32ELi256ELi8ELi16ELi16ELi16ELi2ELi2ENS_8SequenceIJLi32ELi2ELi1EEEENSC_IJLi1ELi0ELi2EEEESE_Li2ELi8ELi8ELb0ELi0ENSC_IJLi16ELi4ELi1EEEESE_SE_Li2ELi16ELi16ELb0ELi0ELi1ELi1ENSC_IJLi1ELi16ELi1ELi4EEEELi4ELNS_26BlockGemmPipelineSchedulerE1ELNS_24BlockGemmPipelineVersionE0EDF16_DF16_Lb0ELb0ELb0ELi0ELb0EEELb0ELNS_25InMemoryDataOperationEnumE0ELi2ELNS_10TailNumberE10EEEvNT_8ArgumentE.num_agpr, 0
	.set _ZN2ck27kernel_gemm_xdl_cshuffle_v3INS_28GridwiseGemm_xdl_cshuffle_v3INS_13tensor_layout4gemm8RowMajorENS3_11ColumnMajorES4_DF16_NS_9f8_fnuz_tEfDF16_DF16_NS_16tensor_operation12element_wise11PassThroughES9_S9_LNS7_6device18GemmSpecializationE0ELi64ELi32ELi32ELi256ELi8ELi16ELi16ELi16ELi2ELi2ENS_8SequenceIJLi32ELi2ELi1EEEENSC_IJLi1ELi0ELi2EEEESE_Li2ELi8ELi8ELb0ELi0ENSC_IJLi16ELi4ELi1EEEESE_SE_Li2ELi16ELi16ELb0ELi0ELi1ELi1ENSC_IJLi1ELi16ELi1ELi4EEEELi4ELNS_26BlockGemmPipelineSchedulerE1ELNS_24BlockGemmPipelineVersionE0EDF16_DF16_Lb0ELb0ELb0ELi0ELb0EEELb0ELNS_25InMemoryDataOperationEnumE0ELi2ELNS_10TailNumberE10EEEvNT_8ArgumentE.numbered_sgpr, 28
	.set _ZN2ck27kernel_gemm_xdl_cshuffle_v3INS_28GridwiseGemm_xdl_cshuffle_v3INS_13tensor_layout4gemm8RowMajorENS3_11ColumnMajorES4_DF16_NS_9f8_fnuz_tEfDF16_DF16_NS_16tensor_operation12element_wise11PassThroughES9_S9_LNS7_6device18GemmSpecializationE0ELi64ELi32ELi32ELi256ELi8ELi16ELi16ELi16ELi2ELi2ENS_8SequenceIJLi32ELi2ELi1EEEENSC_IJLi1ELi0ELi2EEEESE_Li2ELi8ELi8ELb0ELi0ENSC_IJLi16ELi4ELi1EEEESE_SE_Li2ELi16ELi16ELb0ELi0ELi1ELi1ENSC_IJLi1ELi16ELi1ELi4EEEELi4ELNS_26BlockGemmPipelineSchedulerE1ELNS_24BlockGemmPipelineVersionE0EDF16_DF16_Lb0ELb0ELb0ELi0ELb0EEELb0ELNS_25InMemoryDataOperationEnumE0ELi2ELNS_10TailNumberE10EEEvNT_8ArgumentE.num_named_barrier, 0
	.set _ZN2ck27kernel_gemm_xdl_cshuffle_v3INS_28GridwiseGemm_xdl_cshuffle_v3INS_13tensor_layout4gemm8RowMajorENS3_11ColumnMajorES4_DF16_NS_9f8_fnuz_tEfDF16_DF16_NS_16tensor_operation12element_wise11PassThroughES9_S9_LNS7_6device18GemmSpecializationE0ELi64ELi32ELi32ELi256ELi8ELi16ELi16ELi16ELi2ELi2ENS_8SequenceIJLi32ELi2ELi1EEEENSC_IJLi1ELi0ELi2EEEESE_Li2ELi8ELi8ELb0ELi0ENSC_IJLi16ELi4ELi1EEEESE_SE_Li2ELi16ELi16ELb0ELi0ELi1ELi1ENSC_IJLi1ELi16ELi1ELi4EEEELi4ELNS_26BlockGemmPipelineSchedulerE1ELNS_24BlockGemmPipelineVersionE0EDF16_DF16_Lb0ELb0ELb0ELi0ELb0EEELb0ELNS_25InMemoryDataOperationEnumE0ELi2ELNS_10TailNumberE10EEEvNT_8ArgumentE.private_seg_size, 0
	.set _ZN2ck27kernel_gemm_xdl_cshuffle_v3INS_28GridwiseGemm_xdl_cshuffle_v3INS_13tensor_layout4gemm8RowMajorENS3_11ColumnMajorES4_DF16_NS_9f8_fnuz_tEfDF16_DF16_NS_16tensor_operation12element_wise11PassThroughES9_S9_LNS7_6device18GemmSpecializationE0ELi64ELi32ELi32ELi256ELi8ELi16ELi16ELi16ELi2ELi2ENS_8SequenceIJLi32ELi2ELi1EEEENSC_IJLi1ELi0ELi2EEEESE_Li2ELi8ELi8ELb0ELi0ENSC_IJLi16ELi4ELi1EEEESE_SE_Li2ELi16ELi16ELb0ELi0ELi1ELi1ENSC_IJLi1ELi16ELi1ELi4EEEELi4ELNS_26BlockGemmPipelineSchedulerE1ELNS_24BlockGemmPipelineVersionE0EDF16_DF16_Lb0ELb0ELb0ELi0ELb0EEELb0ELNS_25InMemoryDataOperationEnumE0ELi2ELNS_10TailNumberE10EEEvNT_8ArgumentE.uses_vcc, 1
	.set _ZN2ck27kernel_gemm_xdl_cshuffle_v3INS_28GridwiseGemm_xdl_cshuffle_v3INS_13tensor_layout4gemm8RowMajorENS3_11ColumnMajorES4_DF16_NS_9f8_fnuz_tEfDF16_DF16_NS_16tensor_operation12element_wise11PassThroughES9_S9_LNS7_6device18GemmSpecializationE0ELi64ELi32ELi32ELi256ELi8ELi16ELi16ELi16ELi2ELi2ENS_8SequenceIJLi32ELi2ELi1EEEENSC_IJLi1ELi0ELi2EEEESE_Li2ELi8ELi8ELb0ELi0ENSC_IJLi16ELi4ELi1EEEESE_SE_Li2ELi16ELi16ELb0ELi0ELi1ELi1ENSC_IJLi1ELi16ELi1ELi4EEEELi4ELNS_26BlockGemmPipelineSchedulerE1ELNS_24BlockGemmPipelineVersionE0EDF16_DF16_Lb0ELb0ELb0ELi0ELb0EEELb0ELNS_25InMemoryDataOperationEnumE0ELi2ELNS_10TailNumberE10EEEvNT_8ArgumentE.uses_flat_scratch, 0
	.set _ZN2ck27kernel_gemm_xdl_cshuffle_v3INS_28GridwiseGemm_xdl_cshuffle_v3INS_13tensor_layout4gemm8RowMajorENS3_11ColumnMajorES4_DF16_NS_9f8_fnuz_tEfDF16_DF16_NS_16tensor_operation12element_wise11PassThroughES9_S9_LNS7_6device18GemmSpecializationE0ELi64ELi32ELi32ELi256ELi8ELi16ELi16ELi16ELi2ELi2ENS_8SequenceIJLi32ELi2ELi1EEEENSC_IJLi1ELi0ELi2EEEESE_Li2ELi8ELi8ELb0ELi0ENSC_IJLi16ELi4ELi1EEEESE_SE_Li2ELi16ELi16ELb0ELi0ELi1ELi1ENSC_IJLi1ELi16ELi1ELi4EEEELi4ELNS_26BlockGemmPipelineSchedulerE1ELNS_24BlockGemmPipelineVersionE0EDF16_DF16_Lb0ELb0ELb0ELi0ELb0EEELb0ELNS_25InMemoryDataOperationEnumE0ELi2ELNS_10TailNumberE10EEEvNT_8ArgumentE.has_dyn_sized_stack, 0
	.set _ZN2ck27kernel_gemm_xdl_cshuffle_v3INS_28GridwiseGemm_xdl_cshuffle_v3INS_13tensor_layout4gemm8RowMajorENS3_11ColumnMajorES4_DF16_NS_9f8_fnuz_tEfDF16_DF16_NS_16tensor_operation12element_wise11PassThroughES9_S9_LNS7_6device18GemmSpecializationE0ELi64ELi32ELi32ELi256ELi8ELi16ELi16ELi16ELi2ELi2ENS_8SequenceIJLi32ELi2ELi1EEEENSC_IJLi1ELi0ELi2EEEESE_Li2ELi8ELi8ELb0ELi0ENSC_IJLi16ELi4ELi1EEEESE_SE_Li2ELi16ELi16ELb0ELi0ELi1ELi1ENSC_IJLi1ELi16ELi1ELi4EEEELi4ELNS_26BlockGemmPipelineSchedulerE1ELNS_24BlockGemmPipelineVersionE0EDF16_DF16_Lb0ELb0ELb0ELi0ELb0EEELb0ELNS_25InMemoryDataOperationEnumE0ELi2ELNS_10TailNumberE10EEEvNT_8ArgumentE.has_recursion, 0
	.set _ZN2ck27kernel_gemm_xdl_cshuffle_v3INS_28GridwiseGemm_xdl_cshuffle_v3INS_13tensor_layout4gemm8RowMajorENS3_11ColumnMajorES4_DF16_NS_9f8_fnuz_tEfDF16_DF16_NS_16tensor_operation12element_wise11PassThroughES9_S9_LNS7_6device18GemmSpecializationE0ELi64ELi32ELi32ELi256ELi8ELi16ELi16ELi16ELi2ELi2ENS_8SequenceIJLi32ELi2ELi1EEEENSC_IJLi1ELi0ELi2EEEESE_Li2ELi8ELi8ELb0ELi0ENSC_IJLi16ELi4ELi1EEEESE_SE_Li2ELi16ELi16ELb0ELi0ELi1ELi1ENSC_IJLi1ELi16ELi1ELi4EEEELi4ELNS_26BlockGemmPipelineSchedulerE1ELNS_24BlockGemmPipelineVersionE0EDF16_DF16_Lb0ELb0ELb0ELi0ELb0EEELb0ELNS_25InMemoryDataOperationEnumE0ELi2ELNS_10TailNumberE10EEEvNT_8ArgumentE.has_indirect_call, 0
	.section	.AMDGPU.csdata,"",@progbits
; Kernel info:
; codeLenInByte = 4720
; TotalNumSgprs: 34
; NumVgprs: 138
; NumAgprs: 0
; TotalNumVgprs: 138
; ScratchSize: 0
; MemoryBound: 0
; FloatMode: 240
; IeeeMode: 1
; LDSByteSize: 24576 bytes/workgroup (compile time only)
; SGPRBlocks: 12
; VGPRBlocks: 21
; NumSGPRsForWavesPerEU: 102
; NumVGPRsForWavesPerEU: 169
; AccumOffset: 140
; Occupancy: 2
; WaveLimiterHint : 0
; COMPUTE_PGM_RSRC2:SCRATCH_EN: 0
; COMPUTE_PGM_RSRC2:USER_SGPR: 2
; COMPUTE_PGM_RSRC2:TRAP_HANDLER: 0
; COMPUTE_PGM_RSRC2:TGID_X_EN: 1
; COMPUTE_PGM_RSRC2:TGID_Y_EN: 0
; COMPUTE_PGM_RSRC2:TGID_Z_EN: 1
; COMPUTE_PGM_RSRC2:TIDIG_COMP_CNT: 0
; COMPUTE_PGM_RSRC3_GFX90A:ACCUM_OFFSET: 34
; COMPUTE_PGM_RSRC3_GFX90A:TG_SPLIT: 0
	.section	.text._ZN2ck27kernel_gemm_xdl_cshuffle_v3INS_28GridwiseGemm_xdl_cshuffle_v3INS_13tensor_layout4gemm8RowMajorENS3_11ColumnMajorES4_DF16_NS_9f8_fnuz_tEfDF16_DF16_NS_16tensor_operation12element_wise11PassThroughES9_S9_LNS7_6device18GemmSpecializationE0ELi64ELi32ELi32ELi256ELi8ELi16ELi16ELi16ELi2ELi1ENS_8SequenceIJLi32ELi2ELi1EEEENSC_IJLi1ELi0ELi2EEEESE_Li2ELi8ELi8ELb0ELi0ENSC_IJLi16ELi4ELi1EEEESE_SE_Li2ELi16ELi16ELb0ELi0ELi1ELi1ENSC_IJLi1ELi16ELi1ELi4EEEELi4ELNS_26BlockGemmPipelineSchedulerE1ELNS_24BlockGemmPipelineVersionE0EDF16_DF16_Lb0ELb0ELb0ELi0ELb0EEELb1ELNS_25InMemoryDataOperationEnumE1ELi2ELNS_10TailNumberE10EEEvNT_8ArgumentE,"axG",@progbits,_ZN2ck27kernel_gemm_xdl_cshuffle_v3INS_28GridwiseGemm_xdl_cshuffle_v3INS_13tensor_layout4gemm8RowMajorENS3_11ColumnMajorES4_DF16_NS_9f8_fnuz_tEfDF16_DF16_NS_16tensor_operation12element_wise11PassThroughES9_S9_LNS7_6device18GemmSpecializationE0ELi64ELi32ELi32ELi256ELi8ELi16ELi16ELi16ELi2ELi1ENS_8SequenceIJLi32ELi2ELi1EEEENSC_IJLi1ELi0ELi2EEEESE_Li2ELi8ELi8ELb0ELi0ENSC_IJLi16ELi4ELi1EEEESE_SE_Li2ELi16ELi16ELb0ELi0ELi1ELi1ENSC_IJLi1ELi16ELi1ELi4EEEELi4ELNS_26BlockGemmPipelineSchedulerE1ELNS_24BlockGemmPipelineVersionE0EDF16_DF16_Lb0ELb0ELb0ELi0ELb0EEELb1ELNS_25InMemoryDataOperationEnumE1ELi2ELNS_10TailNumberE10EEEvNT_8ArgumentE,comdat
	.protected	_ZN2ck27kernel_gemm_xdl_cshuffle_v3INS_28GridwiseGemm_xdl_cshuffle_v3INS_13tensor_layout4gemm8RowMajorENS3_11ColumnMajorES4_DF16_NS_9f8_fnuz_tEfDF16_DF16_NS_16tensor_operation12element_wise11PassThroughES9_S9_LNS7_6device18GemmSpecializationE0ELi64ELi32ELi32ELi256ELi8ELi16ELi16ELi16ELi2ELi1ENS_8SequenceIJLi32ELi2ELi1EEEENSC_IJLi1ELi0ELi2EEEESE_Li2ELi8ELi8ELb0ELi0ENSC_IJLi16ELi4ELi1EEEESE_SE_Li2ELi16ELi16ELb0ELi0ELi1ELi1ENSC_IJLi1ELi16ELi1ELi4EEEELi4ELNS_26BlockGemmPipelineSchedulerE1ELNS_24BlockGemmPipelineVersionE0EDF16_DF16_Lb0ELb0ELb0ELi0ELb0EEELb1ELNS_25InMemoryDataOperationEnumE1ELi2ELNS_10TailNumberE10EEEvNT_8ArgumentE ; -- Begin function _ZN2ck27kernel_gemm_xdl_cshuffle_v3INS_28GridwiseGemm_xdl_cshuffle_v3INS_13tensor_layout4gemm8RowMajorENS3_11ColumnMajorES4_DF16_NS_9f8_fnuz_tEfDF16_DF16_NS_16tensor_operation12element_wise11PassThroughES9_S9_LNS7_6device18GemmSpecializationE0ELi64ELi32ELi32ELi256ELi8ELi16ELi16ELi16ELi2ELi1ENS_8SequenceIJLi32ELi2ELi1EEEENSC_IJLi1ELi0ELi2EEEESE_Li2ELi8ELi8ELb0ELi0ENSC_IJLi16ELi4ELi1EEEESE_SE_Li2ELi16ELi16ELb0ELi0ELi1ELi1ENSC_IJLi1ELi16ELi1ELi4EEEELi4ELNS_26BlockGemmPipelineSchedulerE1ELNS_24BlockGemmPipelineVersionE0EDF16_DF16_Lb0ELb0ELb0ELi0ELb0EEELb1ELNS_25InMemoryDataOperationEnumE1ELi2ELNS_10TailNumberE10EEEvNT_8ArgumentE
	.globl	_ZN2ck27kernel_gemm_xdl_cshuffle_v3INS_28GridwiseGemm_xdl_cshuffle_v3INS_13tensor_layout4gemm8RowMajorENS3_11ColumnMajorES4_DF16_NS_9f8_fnuz_tEfDF16_DF16_NS_16tensor_operation12element_wise11PassThroughES9_S9_LNS7_6device18GemmSpecializationE0ELi64ELi32ELi32ELi256ELi8ELi16ELi16ELi16ELi2ELi1ENS_8SequenceIJLi32ELi2ELi1EEEENSC_IJLi1ELi0ELi2EEEESE_Li2ELi8ELi8ELb0ELi0ENSC_IJLi16ELi4ELi1EEEESE_SE_Li2ELi16ELi16ELb0ELi0ELi1ELi1ENSC_IJLi1ELi16ELi1ELi4EEEELi4ELNS_26BlockGemmPipelineSchedulerE1ELNS_24BlockGemmPipelineVersionE0EDF16_DF16_Lb0ELb0ELb0ELi0ELb0EEELb1ELNS_25InMemoryDataOperationEnumE1ELi2ELNS_10TailNumberE10EEEvNT_8ArgumentE
	.p2align	8
	.type	_ZN2ck27kernel_gemm_xdl_cshuffle_v3INS_28GridwiseGemm_xdl_cshuffle_v3INS_13tensor_layout4gemm8RowMajorENS3_11ColumnMajorES4_DF16_NS_9f8_fnuz_tEfDF16_DF16_NS_16tensor_operation12element_wise11PassThroughES9_S9_LNS7_6device18GemmSpecializationE0ELi64ELi32ELi32ELi256ELi8ELi16ELi16ELi16ELi2ELi1ENS_8SequenceIJLi32ELi2ELi1EEEENSC_IJLi1ELi0ELi2EEEESE_Li2ELi8ELi8ELb0ELi0ENSC_IJLi16ELi4ELi1EEEESE_SE_Li2ELi16ELi16ELb0ELi0ELi1ELi1ENSC_IJLi1ELi16ELi1ELi4EEEELi4ELNS_26BlockGemmPipelineSchedulerE1ELNS_24BlockGemmPipelineVersionE0EDF16_DF16_Lb0ELb0ELb0ELi0ELb0EEELb1ELNS_25InMemoryDataOperationEnumE1ELi2ELNS_10TailNumberE10EEEvNT_8ArgumentE,@function
_ZN2ck27kernel_gemm_xdl_cshuffle_v3INS_28GridwiseGemm_xdl_cshuffle_v3INS_13tensor_layout4gemm8RowMajorENS3_11ColumnMajorES4_DF16_NS_9f8_fnuz_tEfDF16_DF16_NS_16tensor_operation12element_wise11PassThroughES9_S9_LNS7_6device18GemmSpecializationE0ELi64ELi32ELi32ELi256ELi8ELi16ELi16ELi16ELi2ELi1ENS_8SequenceIJLi32ELi2ELi1EEEENSC_IJLi1ELi0ELi2EEEESE_Li2ELi8ELi8ELb0ELi0ENSC_IJLi16ELi4ELi1EEEESE_SE_Li2ELi16ELi16ELb0ELi0ELi1ELi1ENSC_IJLi1ELi16ELi1ELi4EEEELi4ELNS_26BlockGemmPipelineSchedulerE1ELNS_24BlockGemmPipelineVersionE0EDF16_DF16_Lb0ELb0ELb0ELi0ELb0EEELb1ELNS_25InMemoryDataOperationEnumE1ELi2ELNS_10TailNumberE10EEEvNT_8ArgumentE: ; @_ZN2ck27kernel_gemm_xdl_cshuffle_v3INS_28GridwiseGemm_xdl_cshuffle_v3INS_13tensor_layout4gemm8RowMajorENS3_11ColumnMajorES4_DF16_NS_9f8_fnuz_tEfDF16_DF16_NS_16tensor_operation12element_wise11PassThroughES9_S9_LNS7_6device18GemmSpecializationE0ELi64ELi32ELi32ELi256ELi8ELi16ELi16ELi16ELi2ELi1ENS_8SequenceIJLi32ELi2ELi1EEEENSC_IJLi1ELi0ELi2EEEESE_Li2ELi8ELi8ELb0ELi0ENSC_IJLi16ELi4ELi1EEEESE_SE_Li2ELi16ELi16ELb0ELi0ELi1ELi1ENSC_IJLi1ELi16ELi1ELi4EEEELi4ELNS_26BlockGemmPipelineSchedulerE1ELNS_24BlockGemmPipelineVersionE0EDF16_DF16_Lb0ELb0ELb0ELi0ELb0EEELb1ELNS_25InMemoryDataOperationEnumE1ELi2ELNS_10TailNumberE10EEEvNT_8ArgumentE
; %bb.0:
	s_endpgm
	.section	.rodata,"a",@progbits
	.p2align	6, 0x0
	.amdhsa_kernel _ZN2ck27kernel_gemm_xdl_cshuffle_v3INS_28GridwiseGemm_xdl_cshuffle_v3INS_13tensor_layout4gemm8RowMajorENS3_11ColumnMajorES4_DF16_NS_9f8_fnuz_tEfDF16_DF16_NS_16tensor_operation12element_wise11PassThroughES9_S9_LNS7_6device18GemmSpecializationE0ELi64ELi32ELi32ELi256ELi8ELi16ELi16ELi16ELi2ELi1ENS_8SequenceIJLi32ELi2ELi1EEEENSC_IJLi1ELi0ELi2EEEESE_Li2ELi8ELi8ELb0ELi0ENSC_IJLi16ELi4ELi1EEEESE_SE_Li2ELi16ELi16ELb0ELi0ELi1ELi1ENSC_IJLi1ELi16ELi1ELi4EEEELi4ELNS_26BlockGemmPipelineSchedulerE1ELNS_24BlockGemmPipelineVersionE0EDF16_DF16_Lb0ELb0ELb0ELi0ELb0EEELb1ELNS_25InMemoryDataOperationEnumE1ELi2ELNS_10TailNumberE10EEEvNT_8ArgumentE
		.amdhsa_group_segment_fixed_size 0
		.amdhsa_private_segment_fixed_size 0
		.amdhsa_kernarg_size 112
		.amdhsa_user_sgpr_count 2
		.amdhsa_user_sgpr_dispatch_ptr 0
		.amdhsa_user_sgpr_queue_ptr 0
		.amdhsa_user_sgpr_kernarg_segment_ptr 1
		.amdhsa_user_sgpr_dispatch_id 0
		.amdhsa_user_sgpr_kernarg_preload_length 0
		.amdhsa_user_sgpr_kernarg_preload_offset 0
		.amdhsa_user_sgpr_private_segment_size 0
		.amdhsa_uses_dynamic_stack 0
		.amdhsa_enable_private_segment 0
		.amdhsa_system_sgpr_workgroup_id_x 1
		.amdhsa_system_sgpr_workgroup_id_y 0
		.amdhsa_system_sgpr_workgroup_id_z 0
		.amdhsa_system_sgpr_workgroup_info 0
		.amdhsa_system_vgpr_workitem_id 0
		.amdhsa_next_free_vgpr 1
		.amdhsa_next_free_sgpr 0
		.amdhsa_accum_offset 4
		.amdhsa_reserve_vcc 0
		.amdhsa_float_round_mode_32 0
		.amdhsa_float_round_mode_16_64 0
		.amdhsa_float_denorm_mode_32 3
		.amdhsa_float_denorm_mode_16_64 3
		.amdhsa_dx10_clamp 1
		.amdhsa_ieee_mode 1
		.amdhsa_fp16_overflow 0
		.amdhsa_tg_split 0
		.amdhsa_exception_fp_ieee_invalid_op 0
		.amdhsa_exception_fp_denorm_src 0
		.amdhsa_exception_fp_ieee_div_zero 0
		.amdhsa_exception_fp_ieee_overflow 0
		.amdhsa_exception_fp_ieee_underflow 0
		.amdhsa_exception_fp_ieee_inexact 0
		.amdhsa_exception_int_div_zero 0
	.end_amdhsa_kernel
	.section	.text._ZN2ck27kernel_gemm_xdl_cshuffle_v3INS_28GridwiseGemm_xdl_cshuffle_v3INS_13tensor_layout4gemm8RowMajorENS3_11ColumnMajorES4_DF16_NS_9f8_fnuz_tEfDF16_DF16_NS_16tensor_operation12element_wise11PassThroughES9_S9_LNS7_6device18GemmSpecializationE0ELi64ELi32ELi32ELi256ELi8ELi16ELi16ELi16ELi2ELi1ENS_8SequenceIJLi32ELi2ELi1EEEENSC_IJLi1ELi0ELi2EEEESE_Li2ELi8ELi8ELb0ELi0ENSC_IJLi16ELi4ELi1EEEESE_SE_Li2ELi16ELi16ELb0ELi0ELi1ELi1ENSC_IJLi1ELi16ELi1ELi4EEEELi4ELNS_26BlockGemmPipelineSchedulerE1ELNS_24BlockGemmPipelineVersionE0EDF16_DF16_Lb0ELb0ELb0ELi0ELb0EEELb1ELNS_25InMemoryDataOperationEnumE1ELi2ELNS_10TailNumberE10EEEvNT_8ArgumentE,"axG",@progbits,_ZN2ck27kernel_gemm_xdl_cshuffle_v3INS_28GridwiseGemm_xdl_cshuffle_v3INS_13tensor_layout4gemm8RowMajorENS3_11ColumnMajorES4_DF16_NS_9f8_fnuz_tEfDF16_DF16_NS_16tensor_operation12element_wise11PassThroughES9_S9_LNS7_6device18GemmSpecializationE0ELi64ELi32ELi32ELi256ELi8ELi16ELi16ELi16ELi2ELi1ENS_8SequenceIJLi32ELi2ELi1EEEENSC_IJLi1ELi0ELi2EEEESE_Li2ELi8ELi8ELb0ELi0ENSC_IJLi16ELi4ELi1EEEESE_SE_Li2ELi16ELi16ELb0ELi0ELi1ELi1ENSC_IJLi1ELi16ELi1ELi4EEEELi4ELNS_26BlockGemmPipelineSchedulerE1ELNS_24BlockGemmPipelineVersionE0EDF16_DF16_Lb0ELb0ELb0ELi0ELb0EEELb1ELNS_25InMemoryDataOperationEnumE1ELi2ELNS_10TailNumberE10EEEvNT_8ArgumentE,comdat
.Lfunc_end5:
	.size	_ZN2ck27kernel_gemm_xdl_cshuffle_v3INS_28GridwiseGemm_xdl_cshuffle_v3INS_13tensor_layout4gemm8RowMajorENS3_11ColumnMajorES4_DF16_NS_9f8_fnuz_tEfDF16_DF16_NS_16tensor_operation12element_wise11PassThroughES9_S9_LNS7_6device18GemmSpecializationE0ELi64ELi32ELi32ELi256ELi8ELi16ELi16ELi16ELi2ELi1ENS_8SequenceIJLi32ELi2ELi1EEEENSC_IJLi1ELi0ELi2EEEESE_Li2ELi8ELi8ELb0ELi0ENSC_IJLi16ELi4ELi1EEEESE_SE_Li2ELi16ELi16ELb0ELi0ELi1ELi1ENSC_IJLi1ELi16ELi1ELi4EEEELi4ELNS_26BlockGemmPipelineSchedulerE1ELNS_24BlockGemmPipelineVersionE0EDF16_DF16_Lb0ELb0ELb0ELi0ELb0EEELb1ELNS_25InMemoryDataOperationEnumE1ELi2ELNS_10TailNumberE10EEEvNT_8ArgumentE, .Lfunc_end5-_ZN2ck27kernel_gemm_xdl_cshuffle_v3INS_28GridwiseGemm_xdl_cshuffle_v3INS_13tensor_layout4gemm8RowMajorENS3_11ColumnMajorES4_DF16_NS_9f8_fnuz_tEfDF16_DF16_NS_16tensor_operation12element_wise11PassThroughES9_S9_LNS7_6device18GemmSpecializationE0ELi64ELi32ELi32ELi256ELi8ELi16ELi16ELi16ELi2ELi1ENS_8SequenceIJLi32ELi2ELi1EEEENSC_IJLi1ELi0ELi2EEEESE_Li2ELi8ELi8ELb0ELi0ENSC_IJLi16ELi4ELi1EEEESE_SE_Li2ELi16ELi16ELb0ELi0ELi1ELi1ENSC_IJLi1ELi16ELi1ELi4EEEELi4ELNS_26BlockGemmPipelineSchedulerE1ELNS_24BlockGemmPipelineVersionE0EDF16_DF16_Lb0ELb0ELb0ELi0ELb0EEELb1ELNS_25InMemoryDataOperationEnumE1ELi2ELNS_10TailNumberE10EEEvNT_8ArgumentE
                                        ; -- End function
	.set _ZN2ck27kernel_gemm_xdl_cshuffle_v3INS_28GridwiseGemm_xdl_cshuffle_v3INS_13tensor_layout4gemm8RowMajorENS3_11ColumnMajorES4_DF16_NS_9f8_fnuz_tEfDF16_DF16_NS_16tensor_operation12element_wise11PassThroughES9_S9_LNS7_6device18GemmSpecializationE0ELi64ELi32ELi32ELi256ELi8ELi16ELi16ELi16ELi2ELi1ENS_8SequenceIJLi32ELi2ELi1EEEENSC_IJLi1ELi0ELi2EEEESE_Li2ELi8ELi8ELb0ELi0ENSC_IJLi16ELi4ELi1EEEESE_SE_Li2ELi16ELi16ELb0ELi0ELi1ELi1ENSC_IJLi1ELi16ELi1ELi4EEEELi4ELNS_26BlockGemmPipelineSchedulerE1ELNS_24BlockGemmPipelineVersionE0EDF16_DF16_Lb0ELb0ELb0ELi0ELb0EEELb1ELNS_25InMemoryDataOperationEnumE1ELi2ELNS_10TailNumberE10EEEvNT_8ArgumentE.num_vgpr, 0
	.set _ZN2ck27kernel_gemm_xdl_cshuffle_v3INS_28GridwiseGemm_xdl_cshuffle_v3INS_13tensor_layout4gemm8RowMajorENS3_11ColumnMajorES4_DF16_NS_9f8_fnuz_tEfDF16_DF16_NS_16tensor_operation12element_wise11PassThroughES9_S9_LNS7_6device18GemmSpecializationE0ELi64ELi32ELi32ELi256ELi8ELi16ELi16ELi16ELi2ELi1ENS_8SequenceIJLi32ELi2ELi1EEEENSC_IJLi1ELi0ELi2EEEESE_Li2ELi8ELi8ELb0ELi0ENSC_IJLi16ELi4ELi1EEEESE_SE_Li2ELi16ELi16ELb0ELi0ELi1ELi1ENSC_IJLi1ELi16ELi1ELi4EEEELi4ELNS_26BlockGemmPipelineSchedulerE1ELNS_24BlockGemmPipelineVersionE0EDF16_DF16_Lb0ELb0ELb0ELi0ELb0EEELb1ELNS_25InMemoryDataOperationEnumE1ELi2ELNS_10TailNumberE10EEEvNT_8ArgumentE.num_agpr, 0
	.set _ZN2ck27kernel_gemm_xdl_cshuffle_v3INS_28GridwiseGemm_xdl_cshuffle_v3INS_13tensor_layout4gemm8RowMajorENS3_11ColumnMajorES4_DF16_NS_9f8_fnuz_tEfDF16_DF16_NS_16tensor_operation12element_wise11PassThroughES9_S9_LNS7_6device18GemmSpecializationE0ELi64ELi32ELi32ELi256ELi8ELi16ELi16ELi16ELi2ELi1ENS_8SequenceIJLi32ELi2ELi1EEEENSC_IJLi1ELi0ELi2EEEESE_Li2ELi8ELi8ELb0ELi0ENSC_IJLi16ELi4ELi1EEEESE_SE_Li2ELi16ELi16ELb0ELi0ELi1ELi1ENSC_IJLi1ELi16ELi1ELi4EEEELi4ELNS_26BlockGemmPipelineSchedulerE1ELNS_24BlockGemmPipelineVersionE0EDF16_DF16_Lb0ELb0ELb0ELi0ELb0EEELb1ELNS_25InMemoryDataOperationEnumE1ELi2ELNS_10TailNumberE10EEEvNT_8ArgumentE.numbered_sgpr, 0
	.set _ZN2ck27kernel_gemm_xdl_cshuffle_v3INS_28GridwiseGemm_xdl_cshuffle_v3INS_13tensor_layout4gemm8RowMajorENS3_11ColumnMajorES4_DF16_NS_9f8_fnuz_tEfDF16_DF16_NS_16tensor_operation12element_wise11PassThroughES9_S9_LNS7_6device18GemmSpecializationE0ELi64ELi32ELi32ELi256ELi8ELi16ELi16ELi16ELi2ELi1ENS_8SequenceIJLi32ELi2ELi1EEEENSC_IJLi1ELi0ELi2EEEESE_Li2ELi8ELi8ELb0ELi0ENSC_IJLi16ELi4ELi1EEEESE_SE_Li2ELi16ELi16ELb0ELi0ELi1ELi1ENSC_IJLi1ELi16ELi1ELi4EEEELi4ELNS_26BlockGemmPipelineSchedulerE1ELNS_24BlockGemmPipelineVersionE0EDF16_DF16_Lb0ELb0ELb0ELi0ELb0EEELb1ELNS_25InMemoryDataOperationEnumE1ELi2ELNS_10TailNumberE10EEEvNT_8ArgumentE.num_named_barrier, 0
	.set _ZN2ck27kernel_gemm_xdl_cshuffle_v3INS_28GridwiseGemm_xdl_cshuffle_v3INS_13tensor_layout4gemm8RowMajorENS3_11ColumnMajorES4_DF16_NS_9f8_fnuz_tEfDF16_DF16_NS_16tensor_operation12element_wise11PassThroughES9_S9_LNS7_6device18GemmSpecializationE0ELi64ELi32ELi32ELi256ELi8ELi16ELi16ELi16ELi2ELi1ENS_8SequenceIJLi32ELi2ELi1EEEENSC_IJLi1ELi0ELi2EEEESE_Li2ELi8ELi8ELb0ELi0ENSC_IJLi16ELi4ELi1EEEESE_SE_Li2ELi16ELi16ELb0ELi0ELi1ELi1ENSC_IJLi1ELi16ELi1ELi4EEEELi4ELNS_26BlockGemmPipelineSchedulerE1ELNS_24BlockGemmPipelineVersionE0EDF16_DF16_Lb0ELb0ELb0ELi0ELb0EEELb1ELNS_25InMemoryDataOperationEnumE1ELi2ELNS_10TailNumberE10EEEvNT_8ArgumentE.private_seg_size, 0
	.set _ZN2ck27kernel_gemm_xdl_cshuffle_v3INS_28GridwiseGemm_xdl_cshuffle_v3INS_13tensor_layout4gemm8RowMajorENS3_11ColumnMajorES4_DF16_NS_9f8_fnuz_tEfDF16_DF16_NS_16tensor_operation12element_wise11PassThroughES9_S9_LNS7_6device18GemmSpecializationE0ELi64ELi32ELi32ELi256ELi8ELi16ELi16ELi16ELi2ELi1ENS_8SequenceIJLi32ELi2ELi1EEEENSC_IJLi1ELi0ELi2EEEESE_Li2ELi8ELi8ELb0ELi0ENSC_IJLi16ELi4ELi1EEEESE_SE_Li2ELi16ELi16ELb0ELi0ELi1ELi1ENSC_IJLi1ELi16ELi1ELi4EEEELi4ELNS_26BlockGemmPipelineSchedulerE1ELNS_24BlockGemmPipelineVersionE0EDF16_DF16_Lb0ELb0ELb0ELi0ELb0EEELb1ELNS_25InMemoryDataOperationEnumE1ELi2ELNS_10TailNumberE10EEEvNT_8ArgumentE.uses_vcc, 0
	.set _ZN2ck27kernel_gemm_xdl_cshuffle_v3INS_28GridwiseGemm_xdl_cshuffle_v3INS_13tensor_layout4gemm8RowMajorENS3_11ColumnMajorES4_DF16_NS_9f8_fnuz_tEfDF16_DF16_NS_16tensor_operation12element_wise11PassThroughES9_S9_LNS7_6device18GemmSpecializationE0ELi64ELi32ELi32ELi256ELi8ELi16ELi16ELi16ELi2ELi1ENS_8SequenceIJLi32ELi2ELi1EEEENSC_IJLi1ELi0ELi2EEEESE_Li2ELi8ELi8ELb0ELi0ENSC_IJLi16ELi4ELi1EEEESE_SE_Li2ELi16ELi16ELb0ELi0ELi1ELi1ENSC_IJLi1ELi16ELi1ELi4EEEELi4ELNS_26BlockGemmPipelineSchedulerE1ELNS_24BlockGemmPipelineVersionE0EDF16_DF16_Lb0ELb0ELb0ELi0ELb0EEELb1ELNS_25InMemoryDataOperationEnumE1ELi2ELNS_10TailNumberE10EEEvNT_8ArgumentE.uses_flat_scratch, 0
	.set _ZN2ck27kernel_gemm_xdl_cshuffle_v3INS_28GridwiseGemm_xdl_cshuffle_v3INS_13tensor_layout4gemm8RowMajorENS3_11ColumnMajorES4_DF16_NS_9f8_fnuz_tEfDF16_DF16_NS_16tensor_operation12element_wise11PassThroughES9_S9_LNS7_6device18GemmSpecializationE0ELi64ELi32ELi32ELi256ELi8ELi16ELi16ELi16ELi2ELi1ENS_8SequenceIJLi32ELi2ELi1EEEENSC_IJLi1ELi0ELi2EEEESE_Li2ELi8ELi8ELb0ELi0ENSC_IJLi16ELi4ELi1EEEESE_SE_Li2ELi16ELi16ELb0ELi0ELi1ELi1ENSC_IJLi1ELi16ELi1ELi4EEEELi4ELNS_26BlockGemmPipelineSchedulerE1ELNS_24BlockGemmPipelineVersionE0EDF16_DF16_Lb0ELb0ELb0ELi0ELb0EEELb1ELNS_25InMemoryDataOperationEnumE1ELi2ELNS_10TailNumberE10EEEvNT_8ArgumentE.has_dyn_sized_stack, 0
	.set _ZN2ck27kernel_gemm_xdl_cshuffle_v3INS_28GridwiseGemm_xdl_cshuffle_v3INS_13tensor_layout4gemm8RowMajorENS3_11ColumnMajorES4_DF16_NS_9f8_fnuz_tEfDF16_DF16_NS_16tensor_operation12element_wise11PassThroughES9_S9_LNS7_6device18GemmSpecializationE0ELi64ELi32ELi32ELi256ELi8ELi16ELi16ELi16ELi2ELi1ENS_8SequenceIJLi32ELi2ELi1EEEENSC_IJLi1ELi0ELi2EEEESE_Li2ELi8ELi8ELb0ELi0ENSC_IJLi16ELi4ELi1EEEESE_SE_Li2ELi16ELi16ELb0ELi0ELi1ELi1ENSC_IJLi1ELi16ELi1ELi4EEEELi4ELNS_26BlockGemmPipelineSchedulerE1ELNS_24BlockGemmPipelineVersionE0EDF16_DF16_Lb0ELb0ELb0ELi0ELb0EEELb1ELNS_25InMemoryDataOperationEnumE1ELi2ELNS_10TailNumberE10EEEvNT_8ArgumentE.has_recursion, 0
	.set _ZN2ck27kernel_gemm_xdl_cshuffle_v3INS_28GridwiseGemm_xdl_cshuffle_v3INS_13tensor_layout4gemm8RowMajorENS3_11ColumnMajorES4_DF16_NS_9f8_fnuz_tEfDF16_DF16_NS_16tensor_operation12element_wise11PassThroughES9_S9_LNS7_6device18GemmSpecializationE0ELi64ELi32ELi32ELi256ELi8ELi16ELi16ELi16ELi2ELi1ENS_8SequenceIJLi32ELi2ELi1EEEENSC_IJLi1ELi0ELi2EEEESE_Li2ELi8ELi8ELb0ELi0ENSC_IJLi16ELi4ELi1EEEESE_SE_Li2ELi16ELi16ELb0ELi0ELi1ELi1ENSC_IJLi1ELi16ELi1ELi4EEEELi4ELNS_26BlockGemmPipelineSchedulerE1ELNS_24BlockGemmPipelineVersionE0EDF16_DF16_Lb0ELb0ELb0ELi0ELb0EEELb1ELNS_25InMemoryDataOperationEnumE1ELi2ELNS_10TailNumberE10EEEvNT_8ArgumentE.has_indirect_call, 0
	.section	.AMDGPU.csdata,"",@progbits
; Kernel info:
; codeLenInByte = 4
; TotalNumSgprs: 6
; NumVgprs: 0
; NumAgprs: 0
; TotalNumVgprs: 0
; ScratchSize: 0
; MemoryBound: 0
; FloatMode: 240
; IeeeMode: 1
; LDSByteSize: 0 bytes/workgroup (compile time only)
; SGPRBlocks: 0
; VGPRBlocks: 0
; NumSGPRsForWavesPerEU: 6
; NumVGPRsForWavesPerEU: 1
; AccumOffset: 4
; Occupancy: 8
; WaveLimiterHint : 0
; COMPUTE_PGM_RSRC2:SCRATCH_EN: 0
; COMPUTE_PGM_RSRC2:USER_SGPR: 2
; COMPUTE_PGM_RSRC2:TRAP_HANDLER: 0
; COMPUTE_PGM_RSRC2:TGID_X_EN: 1
; COMPUTE_PGM_RSRC2:TGID_Y_EN: 0
; COMPUTE_PGM_RSRC2:TGID_Z_EN: 0
; COMPUTE_PGM_RSRC2:TIDIG_COMP_CNT: 0
; COMPUTE_PGM_RSRC3_GFX90A:ACCUM_OFFSET: 0
; COMPUTE_PGM_RSRC3_GFX90A:TG_SPLIT: 0
	.section	.text._ZN2ck27kernel_gemm_xdl_cshuffle_v3INS_28GridwiseGemm_xdl_cshuffle_v3INS_13tensor_layout4gemm8RowMajorENS3_11ColumnMajorES4_DF16_NS_9f8_fnuz_tEfDF16_DF16_NS_16tensor_operation12element_wise11PassThroughES9_S9_LNS7_6device18GemmSpecializationE0ELi64ELi32ELi32ELi256ELi8ELi16ELi16ELi16ELi2ELi1ENS_8SequenceIJLi32ELi2ELi1EEEENSC_IJLi1ELi0ELi2EEEESE_Li2ELi8ELi8ELb0ELi0ENSC_IJLi16ELi4ELi1EEEESE_SE_Li2ELi16ELi16ELb0ELi0ELi1ELi1ENSC_IJLi1ELi16ELi1ELi4EEEELi4ELNS_26BlockGemmPipelineSchedulerE1ELNS_24BlockGemmPipelineVersionE0EDF16_DF16_Lb0ELb0ELb0ELi0ELb0EEELb1ELNS_25InMemoryDataOperationEnumE0ELi2ELNS_10TailNumberE10EEEvNT_8ArgumentE,"axG",@progbits,_ZN2ck27kernel_gemm_xdl_cshuffle_v3INS_28GridwiseGemm_xdl_cshuffle_v3INS_13tensor_layout4gemm8RowMajorENS3_11ColumnMajorES4_DF16_NS_9f8_fnuz_tEfDF16_DF16_NS_16tensor_operation12element_wise11PassThroughES9_S9_LNS7_6device18GemmSpecializationE0ELi64ELi32ELi32ELi256ELi8ELi16ELi16ELi16ELi2ELi1ENS_8SequenceIJLi32ELi2ELi1EEEENSC_IJLi1ELi0ELi2EEEESE_Li2ELi8ELi8ELb0ELi0ENSC_IJLi16ELi4ELi1EEEESE_SE_Li2ELi16ELi16ELb0ELi0ELi1ELi1ENSC_IJLi1ELi16ELi1ELi4EEEELi4ELNS_26BlockGemmPipelineSchedulerE1ELNS_24BlockGemmPipelineVersionE0EDF16_DF16_Lb0ELb0ELb0ELi0ELb0EEELb1ELNS_25InMemoryDataOperationEnumE0ELi2ELNS_10TailNumberE10EEEvNT_8ArgumentE,comdat
	.protected	_ZN2ck27kernel_gemm_xdl_cshuffle_v3INS_28GridwiseGemm_xdl_cshuffle_v3INS_13tensor_layout4gemm8RowMajorENS3_11ColumnMajorES4_DF16_NS_9f8_fnuz_tEfDF16_DF16_NS_16tensor_operation12element_wise11PassThroughES9_S9_LNS7_6device18GemmSpecializationE0ELi64ELi32ELi32ELi256ELi8ELi16ELi16ELi16ELi2ELi1ENS_8SequenceIJLi32ELi2ELi1EEEENSC_IJLi1ELi0ELi2EEEESE_Li2ELi8ELi8ELb0ELi0ENSC_IJLi16ELi4ELi1EEEESE_SE_Li2ELi16ELi16ELb0ELi0ELi1ELi1ENSC_IJLi1ELi16ELi1ELi4EEEELi4ELNS_26BlockGemmPipelineSchedulerE1ELNS_24BlockGemmPipelineVersionE0EDF16_DF16_Lb0ELb0ELb0ELi0ELb0EEELb1ELNS_25InMemoryDataOperationEnumE0ELi2ELNS_10TailNumberE10EEEvNT_8ArgumentE ; -- Begin function _ZN2ck27kernel_gemm_xdl_cshuffle_v3INS_28GridwiseGemm_xdl_cshuffle_v3INS_13tensor_layout4gemm8RowMajorENS3_11ColumnMajorES4_DF16_NS_9f8_fnuz_tEfDF16_DF16_NS_16tensor_operation12element_wise11PassThroughES9_S9_LNS7_6device18GemmSpecializationE0ELi64ELi32ELi32ELi256ELi8ELi16ELi16ELi16ELi2ELi1ENS_8SequenceIJLi32ELi2ELi1EEEENSC_IJLi1ELi0ELi2EEEESE_Li2ELi8ELi8ELb0ELi0ENSC_IJLi16ELi4ELi1EEEESE_SE_Li2ELi16ELi16ELb0ELi0ELi1ELi1ENSC_IJLi1ELi16ELi1ELi4EEEELi4ELNS_26BlockGemmPipelineSchedulerE1ELNS_24BlockGemmPipelineVersionE0EDF16_DF16_Lb0ELb0ELb0ELi0ELb0EEELb1ELNS_25InMemoryDataOperationEnumE0ELi2ELNS_10TailNumberE10EEEvNT_8ArgumentE
	.globl	_ZN2ck27kernel_gemm_xdl_cshuffle_v3INS_28GridwiseGemm_xdl_cshuffle_v3INS_13tensor_layout4gemm8RowMajorENS3_11ColumnMajorES4_DF16_NS_9f8_fnuz_tEfDF16_DF16_NS_16tensor_operation12element_wise11PassThroughES9_S9_LNS7_6device18GemmSpecializationE0ELi64ELi32ELi32ELi256ELi8ELi16ELi16ELi16ELi2ELi1ENS_8SequenceIJLi32ELi2ELi1EEEENSC_IJLi1ELi0ELi2EEEESE_Li2ELi8ELi8ELb0ELi0ENSC_IJLi16ELi4ELi1EEEESE_SE_Li2ELi16ELi16ELb0ELi0ELi1ELi1ENSC_IJLi1ELi16ELi1ELi4EEEELi4ELNS_26BlockGemmPipelineSchedulerE1ELNS_24BlockGemmPipelineVersionE0EDF16_DF16_Lb0ELb0ELb0ELi0ELb0EEELb1ELNS_25InMemoryDataOperationEnumE0ELi2ELNS_10TailNumberE10EEEvNT_8ArgumentE
	.p2align	8
	.type	_ZN2ck27kernel_gemm_xdl_cshuffle_v3INS_28GridwiseGemm_xdl_cshuffle_v3INS_13tensor_layout4gemm8RowMajorENS3_11ColumnMajorES4_DF16_NS_9f8_fnuz_tEfDF16_DF16_NS_16tensor_operation12element_wise11PassThroughES9_S9_LNS7_6device18GemmSpecializationE0ELi64ELi32ELi32ELi256ELi8ELi16ELi16ELi16ELi2ELi1ENS_8SequenceIJLi32ELi2ELi1EEEENSC_IJLi1ELi0ELi2EEEESE_Li2ELi8ELi8ELb0ELi0ENSC_IJLi16ELi4ELi1EEEESE_SE_Li2ELi16ELi16ELb0ELi0ELi1ELi1ENSC_IJLi1ELi16ELi1ELi4EEEELi4ELNS_26BlockGemmPipelineSchedulerE1ELNS_24BlockGemmPipelineVersionE0EDF16_DF16_Lb0ELb0ELb0ELi0ELb0EEELb1ELNS_25InMemoryDataOperationEnumE0ELi2ELNS_10TailNumberE10EEEvNT_8ArgumentE,@function
_ZN2ck27kernel_gemm_xdl_cshuffle_v3INS_28GridwiseGemm_xdl_cshuffle_v3INS_13tensor_layout4gemm8RowMajorENS3_11ColumnMajorES4_DF16_NS_9f8_fnuz_tEfDF16_DF16_NS_16tensor_operation12element_wise11PassThroughES9_S9_LNS7_6device18GemmSpecializationE0ELi64ELi32ELi32ELi256ELi8ELi16ELi16ELi16ELi2ELi1ENS_8SequenceIJLi32ELi2ELi1EEEENSC_IJLi1ELi0ELi2EEEESE_Li2ELi8ELi8ELb0ELi0ENSC_IJLi16ELi4ELi1EEEESE_SE_Li2ELi16ELi16ELb0ELi0ELi1ELi1ENSC_IJLi1ELi16ELi1ELi4EEEELi4ELNS_26BlockGemmPipelineSchedulerE1ELNS_24BlockGemmPipelineVersionE0EDF16_DF16_Lb0ELb0ELb0ELi0ELb0EEELb1ELNS_25InMemoryDataOperationEnumE0ELi2ELNS_10TailNumberE10EEEvNT_8ArgumentE: ; @_ZN2ck27kernel_gemm_xdl_cshuffle_v3INS_28GridwiseGemm_xdl_cshuffle_v3INS_13tensor_layout4gemm8RowMajorENS3_11ColumnMajorES4_DF16_NS_9f8_fnuz_tEfDF16_DF16_NS_16tensor_operation12element_wise11PassThroughES9_S9_LNS7_6device18GemmSpecializationE0ELi64ELi32ELi32ELi256ELi8ELi16ELi16ELi16ELi2ELi1ENS_8SequenceIJLi32ELi2ELi1EEEENSC_IJLi1ELi0ELi2EEEESE_Li2ELi8ELi8ELb0ELi0ENSC_IJLi16ELi4ELi1EEEESE_SE_Li2ELi16ELi16ELb0ELi0ELi1ELi1ENSC_IJLi1ELi16ELi1ELi4EEEELi4ELNS_26BlockGemmPipelineSchedulerE1ELNS_24BlockGemmPipelineVersionE0EDF16_DF16_Lb0ELb0ELb0ELi0ELb0EEELb1ELNS_25InMemoryDataOperationEnumE0ELi2ELNS_10TailNumberE10EEEvNT_8ArgumentE
; %bb.0:
	s_endpgm
	.section	.rodata,"a",@progbits
	.p2align	6, 0x0
	.amdhsa_kernel _ZN2ck27kernel_gemm_xdl_cshuffle_v3INS_28GridwiseGemm_xdl_cshuffle_v3INS_13tensor_layout4gemm8RowMajorENS3_11ColumnMajorES4_DF16_NS_9f8_fnuz_tEfDF16_DF16_NS_16tensor_operation12element_wise11PassThroughES9_S9_LNS7_6device18GemmSpecializationE0ELi64ELi32ELi32ELi256ELi8ELi16ELi16ELi16ELi2ELi1ENS_8SequenceIJLi32ELi2ELi1EEEENSC_IJLi1ELi0ELi2EEEESE_Li2ELi8ELi8ELb0ELi0ENSC_IJLi16ELi4ELi1EEEESE_SE_Li2ELi16ELi16ELb0ELi0ELi1ELi1ENSC_IJLi1ELi16ELi1ELi4EEEELi4ELNS_26BlockGemmPipelineSchedulerE1ELNS_24BlockGemmPipelineVersionE0EDF16_DF16_Lb0ELb0ELb0ELi0ELb0EEELb1ELNS_25InMemoryDataOperationEnumE0ELi2ELNS_10TailNumberE10EEEvNT_8ArgumentE
		.amdhsa_group_segment_fixed_size 0
		.amdhsa_private_segment_fixed_size 0
		.amdhsa_kernarg_size 112
		.amdhsa_user_sgpr_count 2
		.amdhsa_user_sgpr_dispatch_ptr 0
		.amdhsa_user_sgpr_queue_ptr 0
		.amdhsa_user_sgpr_kernarg_segment_ptr 1
		.amdhsa_user_sgpr_dispatch_id 0
		.amdhsa_user_sgpr_kernarg_preload_length 0
		.amdhsa_user_sgpr_kernarg_preload_offset 0
		.amdhsa_user_sgpr_private_segment_size 0
		.amdhsa_uses_dynamic_stack 0
		.amdhsa_enable_private_segment 0
		.amdhsa_system_sgpr_workgroup_id_x 1
		.amdhsa_system_sgpr_workgroup_id_y 0
		.amdhsa_system_sgpr_workgroup_id_z 0
		.amdhsa_system_sgpr_workgroup_info 0
		.amdhsa_system_vgpr_workitem_id 0
		.amdhsa_next_free_vgpr 1
		.amdhsa_next_free_sgpr 0
		.amdhsa_accum_offset 4
		.amdhsa_reserve_vcc 0
		.amdhsa_float_round_mode_32 0
		.amdhsa_float_round_mode_16_64 0
		.amdhsa_float_denorm_mode_32 3
		.amdhsa_float_denorm_mode_16_64 3
		.amdhsa_dx10_clamp 1
		.amdhsa_ieee_mode 1
		.amdhsa_fp16_overflow 0
		.amdhsa_tg_split 0
		.amdhsa_exception_fp_ieee_invalid_op 0
		.amdhsa_exception_fp_denorm_src 0
		.amdhsa_exception_fp_ieee_div_zero 0
		.amdhsa_exception_fp_ieee_overflow 0
		.amdhsa_exception_fp_ieee_underflow 0
		.amdhsa_exception_fp_ieee_inexact 0
		.amdhsa_exception_int_div_zero 0
	.end_amdhsa_kernel
	.section	.text._ZN2ck27kernel_gemm_xdl_cshuffle_v3INS_28GridwiseGemm_xdl_cshuffle_v3INS_13tensor_layout4gemm8RowMajorENS3_11ColumnMajorES4_DF16_NS_9f8_fnuz_tEfDF16_DF16_NS_16tensor_operation12element_wise11PassThroughES9_S9_LNS7_6device18GemmSpecializationE0ELi64ELi32ELi32ELi256ELi8ELi16ELi16ELi16ELi2ELi1ENS_8SequenceIJLi32ELi2ELi1EEEENSC_IJLi1ELi0ELi2EEEESE_Li2ELi8ELi8ELb0ELi0ENSC_IJLi16ELi4ELi1EEEESE_SE_Li2ELi16ELi16ELb0ELi0ELi1ELi1ENSC_IJLi1ELi16ELi1ELi4EEEELi4ELNS_26BlockGemmPipelineSchedulerE1ELNS_24BlockGemmPipelineVersionE0EDF16_DF16_Lb0ELb0ELb0ELi0ELb0EEELb1ELNS_25InMemoryDataOperationEnumE0ELi2ELNS_10TailNumberE10EEEvNT_8ArgumentE,"axG",@progbits,_ZN2ck27kernel_gemm_xdl_cshuffle_v3INS_28GridwiseGemm_xdl_cshuffle_v3INS_13tensor_layout4gemm8RowMajorENS3_11ColumnMajorES4_DF16_NS_9f8_fnuz_tEfDF16_DF16_NS_16tensor_operation12element_wise11PassThroughES9_S9_LNS7_6device18GemmSpecializationE0ELi64ELi32ELi32ELi256ELi8ELi16ELi16ELi16ELi2ELi1ENS_8SequenceIJLi32ELi2ELi1EEEENSC_IJLi1ELi0ELi2EEEESE_Li2ELi8ELi8ELb0ELi0ENSC_IJLi16ELi4ELi1EEEESE_SE_Li2ELi16ELi16ELb0ELi0ELi1ELi1ENSC_IJLi1ELi16ELi1ELi4EEEELi4ELNS_26BlockGemmPipelineSchedulerE1ELNS_24BlockGemmPipelineVersionE0EDF16_DF16_Lb0ELb0ELb0ELi0ELb0EEELb1ELNS_25InMemoryDataOperationEnumE0ELi2ELNS_10TailNumberE10EEEvNT_8ArgumentE,comdat
.Lfunc_end6:
	.size	_ZN2ck27kernel_gemm_xdl_cshuffle_v3INS_28GridwiseGemm_xdl_cshuffle_v3INS_13tensor_layout4gemm8RowMajorENS3_11ColumnMajorES4_DF16_NS_9f8_fnuz_tEfDF16_DF16_NS_16tensor_operation12element_wise11PassThroughES9_S9_LNS7_6device18GemmSpecializationE0ELi64ELi32ELi32ELi256ELi8ELi16ELi16ELi16ELi2ELi1ENS_8SequenceIJLi32ELi2ELi1EEEENSC_IJLi1ELi0ELi2EEEESE_Li2ELi8ELi8ELb0ELi0ENSC_IJLi16ELi4ELi1EEEESE_SE_Li2ELi16ELi16ELb0ELi0ELi1ELi1ENSC_IJLi1ELi16ELi1ELi4EEEELi4ELNS_26BlockGemmPipelineSchedulerE1ELNS_24BlockGemmPipelineVersionE0EDF16_DF16_Lb0ELb0ELb0ELi0ELb0EEELb1ELNS_25InMemoryDataOperationEnumE0ELi2ELNS_10TailNumberE10EEEvNT_8ArgumentE, .Lfunc_end6-_ZN2ck27kernel_gemm_xdl_cshuffle_v3INS_28GridwiseGemm_xdl_cshuffle_v3INS_13tensor_layout4gemm8RowMajorENS3_11ColumnMajorES4_DF16_NS_9f8_fnuz_tEfDF16_DF16_NS_16tensor_operation12element_wise11PassThroughES9_S9_LNS7_6device18GemmSpecializationE0ELi64ELi32ELi32ELi256ELi8ELi16ELi16ELi16ELi2ELi1ENS_8SequenceIJLi32ELi2ELi1EEEENSC_IJLi1ELi0ELi2EEEESE_Li2ELi8ELi8ELb0ELi0ENSC_IJLi16ELi4ELi1EEEESE_SE_Li2ELi16ELi16ELb0ELi0ELi1ELi1ENSC_IJLi1ELi16ELi1ELi4EEEELi4ELNS_26BlockGemmPipelineSchedulerE1ELNS_24BlockGemmPipelineVersionE0EDF16_DF16_Lb0ELb0ELb0ELi0ELb0EEELb1ELNS_25InMemoryDataOperationEnumE0ELi2ELNS_10TailNumberE10EEEvNT_8ArgumentE
                                        ; -- End function
	.set _ZN2ck27kernel_gemm_xdl_cshuffle_v3INS_28GridwiseGemm_xdl_cshuffle_v3INS_13tensor_layout4gemm8RowMajorENS3_11ColumnMajorES4_DF16_NS_9f8_fnuz_tEfDF16_DF16_NS_16tensor_operation12element_wise11PassThroughES9_S9_LNS7_6device18GemmSpecializationE0ELi64ELi32ELi32ELi256ELi8ELi16ELi16ELi16ELi2ELi1ENS_8SequenceIJLi32ELi2ELi1EEEENSC_IJLi1ELi0ELi2EEEESE_Li2ELi8ELi8ELb0ELi0ENSC_IJLi16ELi4ELi1EEEESE_SE_Li2ELi16ELi16ELb0ELi0ELi1ELi1ENSC_IJLi1ELi16ELi1ELi4EEEELi4ELNS_26BlockGemmPipelineSchedulerE1ELNS_24BlockGemmPipelineVersionE0EDF16_DF16_Lb0ELb0ELb0ELi0ELb0EEELb1ELNS_25InMemoryDataOperationEnumE0ELi2ELNS_10TailNumberE10EEEvNT_8ArgumentE.num_vgpr, 0
	.set _ZN2ck27kernel_gemm_xdl_cshuffle_v3INS_28GridwiseGemm_xdl_cshuffle_v3INS_13tensor_layout4gemm8RowMajorENS3_11ColumnMajorES4_DF16_NS_9f8_fnuz_tEfDF16_DF16_NS_16tensor_operation12element_wise11PassThroughES9_S9_LNS7_6device18GemmSpecializationE0ELi64ELi32ELi32ELi256ELi8ELi16ELi16ELi16ELi2ELi1ENS_8SequenceIJLi32ELi2ELi1EEEENSC_IJLi1ELi0ELi2EEEESE_Li2ELi8ELi8ELb0ELi0ENSC_IJLi16ELi4ELi1EEEESE_SE_Li2ELi16ELi16ELb0ELi0ELi1ELi1ENSC_IJLi1ELi16ELi1ELi4EEEELi4ELNS_26BlockGemmPipelineSchedulerE1ELNS_24BlockGemmPipelineVersionE0EDF16_DF16_Lb0ELb0ELb0ELi0ELb0EEELb1ELNS_25InMemoryDataOperationEnumE0ELi2ELNS_10TailNumberE10EEEvNT_8ArgumentE.num_agpr, 0
	.set _ZN2ck27kernel_gemm_xdl_cshuffle_v3INS_28GridwiseGemm_xdl_cshuffle_v3INS_13tensor_layout4gemm8RowMajorENS3_11ColumnMajorES4_DF16_NS_9f8_fnuz_tEfDF16_DF16_NS_16tensor_operation12element_wise11PassThroughES9_S9_LNS7_6device18GemmSpecializationE0ELi64ELi32ELi32ELi256ELi8ELi16ELi16ELi16ELi2ELi1ENS_8SequenceIJLi32ELi2ELi1EEEENSC_IJLi1ELi0ELi2EEEESE_Li2ELi8ELi8ELb0ELi0ENSC_IJLi16ELi4ELi1EEEESE_SE_Li2ELi16ELi16ELb0ELi0ELi1ELi1ENSC_IJLi1ELi16ELi1ELi4EEEELi4ELNS_26BlockGemmPipelineSchedulerE1ELNS_24BlockGemmPipelineVersionE0EDF16_DF16_Lb0ELb0ELb0ELi0ELb0EEELb1ELNS_25InMemoryDataOperationEnumE0ELi2ELNS_10TailNumberE10EEEvNT_8ArgumentE.numbered_sgpr, 0
	.set _ZN2ck27kernel_gemm_xdl_cshuffle_v3INS_28GridwiseGemm_xdl_cshuffle_v3INS_13tensor_layout4gemm8RowMajorENS3_11ColumnMajorES4_DF16_NS_9f8_fnuz_tEfDF16_DF16_NS_16tensor_operation12element_wise11PassThroughES9_S9_LNS7_6device18GemmSpecializationE0ELi64ELi32ELi32ELi256ELi8ELi16ELi16ELi16ELi2ELi1ENS_8SequenceIJLi32ELi2ELi1EEEENSC_IJLi1ELi0ELi2EEEESE_Li2ELi8ELi8ELb0ELi0ENSC_IJLi16ELi4ELi1EEEESE_SE_Li2ELi16ELi16ELb0ELi0ELi1ELi1ENSC_IJLi1ELi16ELi1ELi4EEEELi4ELNS_26BlockGemmPipelineSchedulerE1ELNS_24BlockGemmPipelineVersionE0EDF16_DF16_Lb0ELb0ELb0ELi0ELb0EEELb1ELNS_25InMemoryDataOperationEnumE0ELi2ELNS_10TailNumberE10EEEvNT_8ArgumentE.num_named_barrier, 0
	.set _ZN2ck27kernel_gemm_xdl_cshuffle_v3INS_28GridwiseGemm_xdl_cshuffle_v3INS_13tensor_layout4gemm8RowMajorENS3_11ColumnMajorES4_DF16_NS_9f8_fnuz_tEfDF16_DF16_NS_16tensor_operation12element_wise11PassThroughES9_S9_LNS7_6device18GemmSpecializationE0ELi64ELi32ELi32ELi256ELi8ELi16ELi16ELi16ELi2ELi1ENS_8SequenceIJLi32ELi2ELi1EEEENSC_IJLi1ELi0ELi2EEEESE_Li2ELi8ELi8ELb0ELi0ENSC_IJLi16ELi4ELi1EEEESE_SE_Li2ELi16ELi16ELb0ELi0ELi1ELi1ENSC_IJLi1ELi16ELi1ELi4EEEELi4ELNS_26BlockGemmPipelineSchedulerE1ELNS_24BlockGemmPipelineVersionE0EDF16_DF16_Lb0ELb0ELb0ELi0ELb0EEELb1ELNS_25InMemoryDataOperationEnumE0ELi2ELNS_10TailNumberE10EEEvNT_8ArgumentE.private_seg_size, 0
	.set _ZN2ck27kernel_gemm_xdl_cshuffle_v3INS_28GridwiseGemm_xdl_cshuffle_v3INS_13tensor_layout4gemm8RowMajorENS3_11ColumnMajorES4_DF16_NS_9f8_fnuz_tEfDF16_DF16_NS_16tensor_operation12element_wise11PassThroughES9_S9_LNS7_6device18GemmSpecializationE0ELi64ELi32ELi32ELi256ELi8ELi16ELi16ELi16ELi2ELi1ENS_8SequenceIJLi32ELi2ELi1EEEENSC_IJLi1ELi0ELi2EEEESE_Li2ELi8ELi8ELb0ELi0ENSC_IJLi16ELi4ELi1EEEESE_SE_Li2ELi16ELi16ELb0ELi0ELi1ELi1ENSC_IJLi1ELi16ELi1ELi4EEEELi4ELNS_26BlockGemmPipelineSchedulerE1ELNS_24BlockGemmPipelineVersionE0EDF16_DF16_Lb0ELb0ELb0ELi0ELb0EEELb1ELNS_25InMemoryDataOperationEnumE0ELi2ELNS_10TailNumberE10EEEvNT_8ArgumentE.uses_vcc, 0
	.set _ZN2ck27kernel_gemm_xdl_cshuffle_v3INS_28GridwiseGemm_xdl_cshuffle_v3INS_13tensor_layout4gemm8RowMajorENS3_11ColumnMajorES4_DF16_NS_9f8_fnuz_tEfDF16_DF16_NS_16tensor_operation12element_wise11PassThroughES9_S9_LNS7_6device18GemmSpecializationE0ELi64ELi32ELi32ELi256ELi8ELi16ELi16ELi16ELi2ELi1ENS_8SequenceIJLi32ELi2ELi1EEEENSC_IJLi1ELi0ELi2EEEESE_Li2ELi8ELi8ELb0ELi0ENSC_IJLi16ELi4ELi1EEEESE_SE_Li2ELi16ELi16ELb0ELi0ELi1ELi1ENSC_IJLi1ELi16ELi1ELi4EEEELi4ELNS_26BlockGemmPipelineSchedulerE1ELNS_24BlockGemmPipelineVersionE0EDF16_DF16_Lb0ELb0ELb0ELi0ELb0EEELb1ELNS_25InMemoryDataOperationEnumE0ELi2ELNS_10TailNumberE10EEEvNT_8ArgumentE.uses_flat_scratch, 0
	.set _ZN2ck27kernel_gemm_xdl_cshuffle_v3INS_28GridwiseGemm_xdl_cshuffle_v3INS_13tensor_layout4gemm8RowMajorENS3_11ColumnMajorES4_DF16_NS_9f8_fnuz_tEfDF16_DF16_NS_16tensor_operation12element_wise11PassThroughES9_S9_LNS7_6device18GemmSpecializationE0ELi64ELi32ELi32ELi256ELi8ELi16ELi16ELi16ELi2ELi1ENS_8SequenceIJLi32ELi2ELi1EEEENSC_IJLi1ELi0ELi2EEEESE_Li2ELi8ELi8ELb0ELi0ENSC_IJLi16ELi4ELi1EEEESE_SE_Li2ELi16ELi16ELb0ELi0ELi1ELi1ENSC_IJLi1ELi16ELi1ELi4EEEELi4ELNS_26BlockGemmPipelineSchedulerE1ELNS_24BlockGemmPipelineVersionE0EDF16_DF16_Lb0ELb0ELb0ELi0ELb0EEELb1ELNS_25InMemoryDataOperationEnumE0ELi2ELNS_10TailNumberE10EEEvNT_8ArgumentE.has_dyn_sized_stack, 0
	.set _ZN2ck27kernel_gemm_xdl_cshuffle_v3INS_28GridwiseGemm_xdl_cshuffle_v3INS_13tensor_layout4gemm8RowMajorENS3_11ColumnMajorES4_DF16_NS_9f8_fnuz_tEfDF16_DF16_NS_16tensor_operation12element_wise11PassThroughES9_S9_LNS7_6device18GemmSpecializationE0ELi64ELi32ELi32ELi256ELi8ELi16ELi16ELi16ELi2ELi1ENS_8SequenceIJLi32ELi2ELi1EEEENSC_IJLi1ELi0ELi2EEEESE_Li2ELi8ELi8ELb0ELi0ENSC_IJLi16ELi4ELi1EEEESE_SE_Li2ELi16ELi16ELb0ELi0ELi1ELi1ENSC_IJLi1ELi16ELi1ELi4EEEELi4ELNS_26BlockGemmPipelineSchedulerE1ELNS_24BlockGemmPipelineVersionE0EDF16_DF16_Lb0ELb0ELb0ELi0ELb0EEELb1ELNS_25InMemoryDataOperationEnumE0ELi2ELNS_10TailNumberE10EEEvNT_8ArgumentE.has_recursion, 0
	.set _ZN2ck27kernel_gemm_xdl_cshuffle_v3INS_28GridwiseGemm_xdl_cshuffle_v3INS_13tensor_layout4gemm8RowMajorENS3_11ColumnMajorES4_DF16_NS_9f8_fnuz_tEfDF16_DF16_NS_16tensor_operation12element_wise11PassThroughES9_S9_LNS7_6device18GemmSpecializationE0ELi64ELi32ELi32ELi256ELi8ELi16ELi16ELi16ELi2ELi1ENS_8SequenceIJLi32ELi2ELi1EEEENSC_IJLi1ELi0ELi2EEEESE_Li2ELi8ELi8ELb0ELi0ENSC_IJLi16ELi4ELi1EEEESE_SE_Li2ELi16ELi16ELb0ELi0ELi1ELi1ENSC_IJLi1ELi16ELi1ELi4EEEELi4ELNS_26BlockGemmPipelineSchedulerE1ELNS_24BlockGemmPipelineVersionE0EDF16_DF16_Lb0ELb0ELb0ELi0ELb0EEELb1ELNS_25InMemoryDataOperationEnumE0ELi2ELNS_10TailNumberE10EEEvNT_8ArgumentE.has_indirect_call, 0
	.section	.AMDGPU.csdata,"",@progbits
; Kernel info:
; codeLenInByte = 4
; TotalNumSgprs: 6
; NumVgprs: 0
; NumAgprs: 0
; TotalNumVgprs: 0
; ScratchSize: 0
; MemoryBound: 0
; FloatMode: 240
; IeeeMode: 1
; LDSByteSize: 0 bytes/workgroup (compile time only)
; SGPRBlocks: 0
; VGPRBlocks: 0
; NumSGPRsForWavesPerEU: 6
; NumVGPRsForWavesPerEU: 1
; AccumOffset: 4
; Occupancy: 8
; WaveLimiterHint : 0
; COMPUTE_PGM_RSRC2:SCRATCH_EN: 0
; COMPUTE_PGM_RSRC2:USER_SGPR: 2
; COMPUTE_PGM_RSRC2:TRAP_HANDLER: 0
; COMPUTE_PGM_RSRC2:TGID_X_EN: 1
; COMPUTE_PGM_RSRC2:TGID_Y_EN: 0
; COMPUTE_PGM_RSRC2:TGID_Z_EN: 0
; COMPUTE_PGM_RSRC2:TIDIG_COMP_CNT: 0
; COMPUTE_PGM_RSRC3_GFX90A:ACCUM_OFFSET: 0
; COMPUTE_PGM_RSRC3_GFX90A:TG_SPLIT: 0
	.section	.text._ZN2ck27kernel_gemm_xdl_cshuffle_v3INS_28GridwiseGemm_xdl_cshuffle_v3INS_13tensor_layout4gemm8RowMajorENS3_11ColumnMajorES4_DF16_NS_9f8_fnuz_tEfDF16_DF16_NS_16tensor_operation12element_wise11PassThroughES9_S9_LNS7_6device18GemmSpecializationE0ELi64ELi32ELi32ELi256ELi8ELi16ELi16ELi16ELi2ELi1ENS_8SequenceIJLi32ELi2ELi1EEEENSC_IJLi1ELi0ELi2EEEESE_Li2ELi8ELi8ELb0ELi0ENSC_IJLi16ELi4ELi1EEEESE_SE_Li2ELi16ELi16ELb0ELi0ELi1ELi1ENSC_IJLi1ELi16ELi1ELi4EEEELi4ELNS_26BlockGemmPipelineSchedulerE1ELNS_24BlockGemmPipelineVersionE0EDF16_DF16_Lb0ELb0ELb0ELi0ELb0EEELb0ELNS_25InMemoryDataOperationEnumE1ELi2ELNS_10TailNumberE10EEEvNT_8ArgumentE,"axG",@progbits,_ZN2ck27kernel_gemm_xdl_cshuffle_v3INS_28GridwiseGemm_xdl_cshuffle_v3INS_13tensor_layout4gemm8RowMajorENS3_11ColumnMajorES4_DF16_NS_9f8_fnuz_tEfDF16_DF16_NS_16tensor_operation12element_wise11PassThroughES9_S9_LNS7_6device18GemmSpecializationE0ELi64ELi32ELi32ELi256ELi8ELi16ELi16ELi16ELi2ELi1ENS_8SequenceIJLi32ELi2ELi1EEEENSC_IJLi1ELi0ELi2EEEESE_Li2ELi8ELi8ELb0ELi0ENSC_IJLi16ELi4ELi1EEEESE_SE_Li2ELi16ELi16ELb0ELi0ELi1ELi1ENSC_IJLi1ELi16ELi1ELi4EEEELi4ELNS_26BlockGemmPipelineSchedulerE1ELNS_24BlockGemmPipelineVersionE0EDF16_DF16_Lb0ELb0ELb0ELi0ELb0EEELb0ELNS_25InMemoryDataOperationEnumE1ELi2ELNS_10TailNumberE10EEEvNT_8ArgumentE,comdat
	.protected	_ZN2ck27kernel_gemm_xdl_cshuffle_v3INS_28GridwiseGemm_xdl_cshuffle_v3INS_13tensor_layout4gemm8RowMajorENS3_11ColumnMajorES4_DF16_NS_9f8_fnuz_tEfDF16_DF16_NS_16tensor_operation12element_wise11PassThroughES9_S9_LNS7_6device18GemmSpecializationE0ELi64ELi32ELi32ELi256ELi8ELi16ELi16ELi16ELi2ELi1ENS_8SequenceIJLi32ELi2ELi1EEEENSC_IJLi1ELi0ELi2EEEESE_Li2ELi8ELi8ELb0ELi0ENSC_IJLi16ELi4ELi1EEEESE_SE_Li2ELi16ELi16ELb0ELi0ELi1ELi1ENSC_IJLi1ELi16ELi1ELi4EEEELi4ELNS_26BlockGemmPipelineSchedulerE1ELNS_24BlockGemmPipelineVersionE0EDF16_DF16_Lb0ELb0ELb0ELi0ELb0EEELb0ELNS_25InMemoryDataOperationEnumE1ELi2ELNS_10TailNumberE10EEEvNT_8ArgumentE ; -- Begin function _ZN2ck27kernel_gemm_xdl_cshuffle_v3INS_28GridwiseGemm_xdl_cshuffle_v3INS_13tensor_layout4gemm8RowMajorENS3_11ColumnMajorES4_DF16_NS_9f8_fnuz_tEfDF16_DF16_NS_16tensor_operation12element_wise11PassThroughES9_S9_LNS7_6device18GemmSpecializationE0ELi64ELi32ELi32ELi256ELi8ELi16ELi16ELi16ELi2ELi1ENS_8SequenceIJLi32ELi2ELi1EEEENSC_IJLi1ELi0ELi2EEEESE_Li2ELi8ELi8ELb0ELi0ENSC_IJLi16ELi4ELi1EEEESE_SE_Li2ELi16ELi16ELb0ELi0ELi1ELi1ENSC_IJLi1ELi16ELi1ELi4EEEELi4ELNS_26BlockGemmPipelineSchedulerE1ELNS_24BlockGemmPipelineVersionE0EDF16_DF16_Lb0ELb0ELb0ELi0ELb0EEELb0ELNS_25InMemoryDataOperationEnumE1ELi2ELNS_10TailNumberE10EEEvNT_8ArgumentE
	.globl	_ZN2ck27kernel_gemm_xdl_cshuffle_v3INS_28GridwiseGemm_xdl_cshuffle_v3INS_13tensor_layout4gemm8RowMajorENS3_11ColumnMajorES4_DF16_NS_9f8_fnuz_tEfDF16_DF16_NS_16tensor_operation12element_wise11PassThroughES9_S9_LNS7_6device18GemmSpecializationE0ELi64ELi32ELi32ELi256ELi8ELi16ELi16ELi16ELi2ELi1ENS_8SequenceIJLi32ELi2ELi1EEEENSC_IJLi1ELi0ELi2EEEESE_Li2ELi8ELi8ELb0ELi0ENSC_IJLi16ELi4ELi1EEEESE_SE_Li2ELi16ELi16ELb0ELi0ELi1ELi1ENSC_IJLi1ELi16ELi1ELi4EEEELi4ELNS_26BlockGemmPipelineSchedulerE1ELNS_24BlockGemmPipelineVersionE0EDF16_DF16_Lb0ELb0ELb0ELi0ELb0EEELb0ELNS_25InMemoryDataOperationEnumE1ELi2ELNS_10TailNumberE10EEEvNT_8ArgumentE
	.p2align	8
	.type	_ZN2ck27kernel_gemm_xdl_cshuffle_v3INS_28GridwiseGemm_xdl_cshuffle_v3INS_13tensor_layout4gemm8RowMajorENS3_11ColumnMajorES4_DF16_NS_9f8_fnuz_tEfDF16_DF16_NS_16tensor_operation12element_wise11PassThroughES9_S9_LNS7_6device18GemmSpecializationE0ELi64ELi32ELi32ELi256ELi8ELi16ELi16ELi16ELi2ELi1ENS_8SequenceIJLi32ELi2ELi1EEEENSC_IJLi1ELi0ELi2EEEESE_Li2ELi8ELi8ELb0ELi0ENSC_IJLi16ELi4ELi1EEEESE_SE_Li2ELi16ELi16ELb0ELi0ELi1ELi1ENSC_IJLi1ELi16ELi1ELi4EEEELi4ELNS_26BlockGemmPipelineSchedulerE1ELNS_24BlockGemmPipelineVersionE0EDF16_DF16_Lb0ELb0ELb0ELi0ELb0EEELb0ELNS_25InMemoryDataOperationEnumE1ELi2ELNS_10TailNumberE10EEEvNT_8ArgumentE,@function
_ZN2ck27kernel_gemm_xdl_cshuffle_v3INS_28GridwiseGemm_xdl_cshuffle_v3INS_13tensor_layout4gemm8RowMajorENS3_11ColumnMajorES4_DF16_NS_9f8_fnuz_tEfDF16_DF16_NS_16tensor_operation12element_wise11PassThroughES9_S9_LNS7_6device18GemmSpecializationE0ELi64ELi32ELi32ELi256ELi8ELi16ELi16ELi16ELi2ELi1ENS_8SequenceIJLi32ELi2ELi1EEEENSC_IJLi1ELi0ELi2EEEESE_Li2ELi8ELi8ELb0ELi0ENSC_IJLi16ELi4ELi1EEEESE_SE_Li2ELi16ELi16ELb0ELi0ELi1ELi1ENSC_IJLi1ELi16ELi1ELi4EEEELi4ELNS_26BlockGemmPipelineSchedulerE1ELNS_24BlockGemmPipelineVersionE0EDF16_DF16_Lb0ELb0ELb0ELi0ELb0EEELb0ELNS_25InMemoryDataOperationEnumE1ELi2ELNS_10TailNumberE10EEEvNT_8ArgumentE: ; @_ZN2ck27kernel_gemm_xdl_cshuffle_v3INS_28GridwiseGemm_xdl_cshuffle_v3INS_13tensor_layout4gemm8RowMajorENS3_11ColumnMajorES4_DF16_NS_9f8_fnuz_tEfDF16_DF16_NS_16tensor_operation12element_wise11PassThroughES9_S9_LNS7_6device18GemmSpecializationE0ELi64ELi32ELi32ELi256ELi8ELi16ELi16ELi16ELi2ELi1ENS_8SequenceIJLi32ELi2ELi1EEEENSC_IJLi1ELi0ELi2EEEESE_Li2ELi8ELi8ELb0ELi0ENSC_IJLi16ELi4ELi1EEEESE_SE_Li2ELi16ELi16ELb0ELi0ELi1ELi1ENSC_IJLi1ELi16ELi1ELi4EEEELi4ELNS_26BlockGemmPipelineSchedulerE1ELNS_24BlockGemmPipelineVersionE0EDF16_DF16_Lb0ELb0ELb0ELi0ELb0EEELb0ELNS_25InMemoryDataOperationEnumE1ELi2ELNS_10TailNumberE10EEEvNT_8ArgumentE
; %bb.0:
	s_endpgm
	.section	.rodata,"a",@progbits
	.p2align	6, 0x0
	.amdhsa_kernel _ZN2ck27kernel_gemm_xdl_cshuffle_v3INS_28GridwiseGemm_xdl_cshuffle_v3INS_13tensor_layout4gemm8RowMajorENS3_11ColumnMajorES4_DF16_NS_9f8_fnuz_tEfDF16_DF16_NS_16tensor_operation12element_wise11PassThroughES9_S9_LNS7_6device18GemmSpecializationE0ELi64ELi32ELi32ELi256ELi8ELi16ELi16ELi16ELi2ELi1ENS_8SequenceIJLi32ELi2ELi1EEEENSC_IJLi1ELi0ELi2EEEESE_Li2ELi8ELi8ELb0ELi0ENSC_IJLi16ELi4ELi1EEEESE_SE_Li2ELi16ELi16ELb0ELi0ELi1ELi1ENSC_IJLi1ELi16ELi1ELi4EEEELi4ELNS_26BlockGemmPipelineSchedulerE1ELNS_24BlockGemmPipelineVersionE0EDF16_DF16_Lb0ELb0ELb0ELi0ELb0EEELb0ELNS_25InMemoryDataOperationEnumE1ELi2ELNS_10TailNumberE10EEEvNT_8ArgumentE
		.amdhsa_group_segment_fixed_size 0
		.amdhsa_private_segment_fixed_size 0
		.amdhsa_kernarg_size 112
		.amdhsa_user_sgpr_count 2
		.amdhsa_user_sgpr_dispatch_ptr 0
		.amdhsa_user_sgpr_queue_ptr 0
		.amdhsa_user_sgpr_kernarg_segment_ptr 1
		.amdhsa_user_sgpr_dispatch_id 0
		.amdhsa_user_sgpr_kernarg_preload_length 0
		.amdhsa_user_sgpr_kernarg_preload_offset 0
		.amdhsa_user_sgpr_private_segment_size 0
		.amdhsa_uses_dynamic_stack 0
		.amdhsa_enable_private_segment 0
		.amdhsa_system_sgpr_workgroup_id_x 1
		.amdhsa_system_sgpr_workgroup_id_y 0
		.amdhsa_system_sgpr_workgroup_id_z 0
		.amdhsa_system_sgpr_workgroup_info 0
		.amdhsa_system_vgpr_workitem_id 0
		.amdhsa_next_free_vgpr 1
		.amdhsa_next_free_sgpr 0
		.amdhsa_accum_offset 4
		.amdhsa_reserve_vcc 0
		.amdhsa_float_round_mode_32 0
		.amdhsa_float_round_mode_16_64 0
		.amdhsa_float_denorm_mode_32 3
		.amdhsa_float_denorm_mode_16_64 3
		.amdhsa_dx10_clamp 1
		.amdhsa_ieee_mode 1
		.amdhsa_fp16_overflow 0
		.amdhsa_tg_split 0
		.amdhsa_exception_fp_ieee_invalid_op 0
		.amdhsa_exception_fp_denorm_src 0
		.amdhsa_exception_fp_ieee_div_zero 0
		.amdhsa_exception_fp_ieee_overflow 0
		.amdhsa_exception_fp_ieee_underflow 0
		.amdhsa_exception_fp_ieee_inexact 0
		.amdhsa_exception_int_div_zero 0
	.end_amdhsa_kernel
	.section	.text._ZN2ck27kernel_gemm_xdl_cshuffle_v3INS_28GridwiseGemm_xdl_cshuffle_v3INS_13tensor_layout4gemm8RowMajorENS3_11ColumnMajorES4_DF16_NS_9f8_fnuz_tEfDF16_DF16_NS_16tensor_operation12element_wise11PassThroughES9_S9_LNS7_6device18GemmSpecializationE0ELi64ELi32ELi32ELi256ELi8ELi16ELi16ELi16ELi2ELi1ENS_8SequenceIJLi32ELi2ELi1EEEENSC_IJLi1ELi0ELi2EEEESE_Li2ELi8ELi8ELb0ELi0ENSC_IJLi16ELi4ELi1EEEESE_SE_Li2ELi16ELi16ELb0ELi0ELi1ELi1ENSC_IJLi1ELi16ELi1ELi4EEEELi4ELNS_26BlockGemmPipelineSchedulerE1ELNS_24BlockGemmPipelineVersionE0EDF16_DF16_Lb0ELb0ELb0ELi0ELb0EEELb0ELNS_25InMemoryDataOperationEnumE1ELi2ELNS_10TailNumberE10EEEvNT_8ArgumentE,"axG",@progbits,_ZN2ck27kernel_gemm_xdl_cshuffle_v3INS_28GridwiseGemm_xdl_cshuffle_v3INS_13tensor_layout4gemm8RowMajorENS3_11ColumnMajorES4_DF16_NS_9f8_fnuz_tEfDF16_DF16_NS_16tensor_operation12element_wise11PassThroughES9_S9_LNS7_6device18GemmSpecializationE0ELi64ELi32ELi32ELi256ELi8ELi16ELi16ELi16ELi2ELi1ENS_8SequenceIJLi32ELi2ELi1EEEENSC_IJLi1ELi0ELi2EEEESE_Li2ELi8ELi8ELb0ELi0ENSC_IJLi16ELi4ELi1EEEESE_SE_Li2ELi16ELi16ELb0ELi0ELi1ELi1ENSC_IJLi1ELi16ELi1ELi4EEEELi4ELNS_26BlockGemmPipelineSchedulerE1ELNS_24BlockGemmPipelineVersionE0EDF16_DF16_Lb0ELb0ELb0ELi0ELb0EEELb0ELNS_25InMemoryDataOperationEnumE1ELi2ELNS_10TailNumberE10EEEvNT_8ArgumentE,comdat
.Lfunc_end7:
	.size	_ZN2ck27kernel_gemm_xdl_cshuffle_v3INS_28GridwiseGemm_xdl_cshuffle_v3INS_13tensor_layout4gemm8RowMajorENS3_11ColumnMajorES4_DF16_NS_9f8_fnuz_tEfDF16_DF16_NS_16tensor_operation12element_wise11PassThroughES9_S9_LNS7_6device18GemmSpecializationE0ELi64ELi32ELi32ELi256ELi8ELi16ELi16ELi16ELi2ELi1ENS_8SequenceIJLi32ELi2ELi1EEEENSC_IJLi1ELi0ELi2EEEESE_Li2ELi8ELi8ELb0ELi0ENSC_IJLi16ELi4ELi1EEEESE_SE_Li2ELi16ELi16ELb0ELi0ELi1ELi1ENSC_IJLi1ELi16ELi1ELi4EEEELi4ELNS_26BlockGemmPipelineSchedulerE1ELNS_24BlockGemmPipelineVersionE0EDF16_DF16_Lb0ELb0ELb0ELi0ELb0EEELb0ELNS_25InMemoryDataOperationEnumE1ELi2ELNS_10TailNumberE10EEEvNT_8ArgumentE, .Lfunc_end7-_ZN2ck27kernel_gemm_xdl_cshuffle_v3INS_28GridwiseGemm_xdl_cshuffle_v3INS_13tensor_layout4gemm8RowMajorENS3_11ColumnMajorES4_DF16_NS_9f8_fnuz_tEfDF16_DF16_NS_16tensor_operation12element_wise11PassThroughES9_S9_LNS7_6device18GemmSpecializationE0ELi64ELi32ELi32ELi256ELi8ELi16ELi16ELi16ELi2ELi1ENS_8SequenceIJLi32ELi2ELi1EEEENSC_IJLi1ELi0ELi2EEEESE_Li2ELi8ELi8ELb0ELi0ENSC_IJLi16ELi4ELi1EEEESE_SE_Li2ELi16ELi16ELb0ELi0ELi1ELi1ENSC_IJLi1ELi16ELi1ELi4EEEELi4ELNS_26BlockGemmPipelineSchedulerE1ELNS_24BlockGemmPipelineVersionE0EDF16_DF16_Lb0ELb0ELb0ELi0ELb0EEELb0ELNS_25InMemoryDataOperationEnumE1ELi2ELNS_10TailNumberE10EEEvNT_8ArgumentE
                                        ; -- End function
	.set _ZN2ck27kernel_gemm_xdl_cshuffle_v3INS_28GridwiseGemm_xdl_cshuffle_v3INS_13tensor_layout4gemm8RowMajorENS3_11ColumnMajorES4_DF16_NS_9f8_fnuz_tEfDF16_DF16_NS_16tensor_operation12element_wise11PassThroughES9_S9_LNS7_6device18GemmSpecializationE0ELi64ELi32ELi32ELi256ELi8ELi16ELi16ELi16ELi2ELi1ENS_8SequenceIJLi32ELi2ELi1EEEENSC_IJLi1ELi0ELi2EEEESE_Li2ELi8ELi8ELb0ELi0ENSC_IJLi16ELi4ELi1EEEESE_SE_Li2ELi16ELi16ELb0ELi0ELi1ELi1ENSC_IJLi1ELi16ELi1ELi4EEEELi4ELNS_26BlockGemmPipelineSchedulerE1ELNS_24BlockGemmPipelineVersionE0EDF16_DF16_Lb0ELb0ELb0ELi0ELb0EEELb0ELNS_25InMemoryDataOperationEnumE1ELi2ELNS_10TailNumberE10EEEvNT_8ArgumentE.num_vgpr, 0
	.set _ZN2ck27kernel_gemm_xdl_cshuffle_v3INS_28GridwiseGemm_xdl_cshuffle_v3INS_13tensor_layout4gemm8RowMajorENS3_11ColumnMajorES4_DF16_NS_9f8_fnuz_tEfDF16_DF16_NS_16tensor_operation12element_wise11PassThroughES9_S9_LNS7_6device18GemmSpecializationE0ELi64ELi32ELi32ELi256ELi8ELi16ELi16ELi16ELi2ELi1ENS_8SequenceIJLi32ELi2ELi1EEEENSC_IJLi1ELi0ELi2EEEESE_Li2ELi8ELi8ELb0ELi0ENSC_IJLi16ELi4ELi1EEEESE_SE_Li2ELi16ELi16ELb0ELi0ELi1ELi1ENSC_IJLi1ELi16ELi1ELi4EEEELi4ELNS_26BlockGemmPipelineSchedulerE1ELNS_24BlockGemmPipelineVersionE0EDF16_DF16_Lb0ELb0ELb0ELi0ELb0EEELb0ELNS_25InMemoryDataOperationEnumE1ELi2ELNS_10TailNumberE10EEEvNT_8ArgumentE.num_agpr, 0
	.set _ZN2ck27kernel_gemm_xdl_cshuffle_v3INS_28GridwiseGemm_xdl_cshuffle_v3INS_13tensor_layout4gemm8RowMajorENS3_11ColumnMajorES4_DF16_NS_9f8_fnuz_tEfDF16_DF16_NS_16tensor_operation12element_wise11PassThroughES9_S9_LNS7_6device18GemmSpecializationE0ELi64ELi32ELi32ELi256ELi8ELi16ELi16ELi16ELi2ELi1ENS_8SequenceIJLi32ELi2ELi1EEEENSC_IJLi1ELi0ELi2EEEESE_Li2ELi8ELi8ELb0ELi0ENSC_IJLi16ELi4ELi1EEEESE_SE_Li2ELi16ELi16ELb0ELi0ELi1ELi1ENSC_IJLi1ELi16ELi1ELi4EEEELi4ELNS_26BlockGemmPipelineSchedulerE1ELNS_24BlockGemmPipelineVersionE0EDF16_DF16_Lb0ELb0ELb0ELi0ELb0EEELb0ELNS_25InMemoryDataOperationEnumE1ELi2ELNS_10TailNumberE10EEEvNT_8ArgumentE.numbered_sgpr, 0
	.set _ZN2ck27kernel_gemm_xdl_cshuffle_v3INS_28GridwiseGemm_xdl_cshuffle_v3INS_13tensor_layout4gemm8RowMajorENS3_11ColumnMajorES4_DF16_NS_9f8_fnuz_tEfDF16_DF16_NS_16tensor_operation12element_wise11PassThroughES9_S9_LNS7_6device18GemmSpecializationE0ELi64ELi32ELi32ELi256ELi8ELi16ELi16ELi16ELi2ELi1ENS_8SequenceIJLi32ELi2ELi1EEEENSC_IJLi1ELi0ELi2EEEESE_Li2ELi8ELi8ELb0ELi0ENSC_IJLi16ELi4ELi1EEEESE_SE_Li2ELi16ELi16ELb0ELi0ELi1ELi1ENSC_IJLi1ELi16ELi1ELi4EEEELi4ELNS_26BlockGemmPipelineSchedulerE1ELNS_24BlockGemmPipelineVersionE0EDF16_DF16_Lb0ELb0ELb0ELi0ELb0EEELb0ELNS_25InMemoryDataOperationEnumE1ELi2ELNS_10TailNumberE10EEEvNT_8ArgumentE.num_named_barrier, 0
	.set _ZN2ck27kernel_gemm_xdl_cshuffle_v3INS_28GridwiseGemm_xdl_cshuffle_v3INS_13tensor_layout4gemm8RowMajorENS3_11ColumnMajorES4_DF16_NS_9f8_fnuz_tEfDF16_DF16_NS_16tensor_operation12element_wise11PassThroughES9_S9_LNS7_6device18GemmSpecializationE0ELi64ELi32ELi32ELi256ELi8ELi16ELi16ELi16ELi2ELi1ENS_8SequenceIJLi32ELi2ELi1EEEENSC_IJLi1ELi0ELi2EEEESE_Li2ELi8ELi8ELb0ELi0ENSC_IJLi16ELi4ELi1EEEESE_SE_Li2ELi16ELi16ELb0ELi0ELi1ELi1ENSC_IJLi1ELi16ELi1ELi4EEEELi4ELNS_26BlockGemmPipelineSchedulerE1ELNS_24BlockGemmPipelineVersionE0EDF16_DF16_Lb0ELb0ELb0ELi0ELb0EEELb0ELNS_25InMemoryDataOperationEnumE1ELi2ELNS_10TailNumberE10EEEvNT_8ArgumentE.private_seg_size, 0
	.set _ZN2ck27kernel_gemm_xdl_cshuffle_v3INS_28GridwiseGemm_xdl_cshuffle_v3INS_13tensor_layout4gemm8RowMajorENS3_11ColumnMajorES4_DF16_NS_9f8_fnuz_tEfDF16_DF16_NS_16tensor_operation12element_wise11PassThroughES9_S9_LNS7_6device18GemmSpecializationE0ELi64ELi32ELi32ELi256ELi8ELi16ELi16ELi16ELi2ELi1ENS_8SequenceIJLi32ELi2ELi1EEEENSC_IJLi1ELi0ELi2EEEESE_Li2ELi8ELi8ELb0ELi0ENSC_IJLi16ELi4ELi1EEEESE_SE_Li2ELi16ELi16ELb0ELi0ELi1ELi1ENSC_IJLi1ELi16ELi1ELi4EEEELi4ELNS_26BlockGemmPipelineSchedulerE1ELNS_24BlockGemmPipelineVersionE0EDF16_DF16_Lb0ELb0ELb0ELi0ELb0EEELb0ELNS_25InMemoryDataOperationEnumE1ELi2ELNS_10TailNumberE10EEEvNT_8ArgumentE.uses_vcc, 0
	.set _ZN2ck27kernel_gemm_xdl_cshuffle_v3INS_28GridwiseGemm_xdl_cshuffle_v3INS_13tensor_layout4gemm8RowMajorENS3_11ColumnMajorES4_DF16_NS_9f8_fnuz_tEfDF16_DF16_NS_16tensor_operation12element_wise11PassThroughES9_S9_LNS7_6device18GemmSpecializationE0ELi64ELi32ELi32ELi256ELi8ELi16ELi16ELi16ELi2ELi1ENS_8SequenceIJLi32ELi2ELi1EEEENSC_IJLi1ELi0ELi2EEEESE_Li2ELi8ELi8ELb0ELi0ENSC_IJLi16ELi4ELi1EEEESE_SE_Li2ELi16ELi16ELb0ELi0ELi1ELi1ENSC_IJLi1ELi16ELi1ELi4EEEELi4ELNS_26BlockGemmPipelineSchedulerE1ELNS_24BlockGemmPipelineVersionE0EDF16_DF16_Lb0ELb0ELb0ELi0ELb0EEELb0ELNS_25InMemoryDataOperationEnumE1ELi2ELNS_10TailNumberE10EEEvNT_8ArgumentE.uses_flat_scratch, 0
	.set _ZN2ck27kernel_gemm_xdl_cshuffle_v3INS_28GridwiseGemm_xdl_cshuffle_v3INS_13tensor_layout4gemm8RowMajorENS3_11ColumnMajorES4_DF16_NS_9f8_fnuz_tEfDF16_DF16_NS_16tensor_operation12element_wise11PassThroughES9_S9_LNS7_6device18GemmSpecializationE0ELi64ELi32ELi32ELi256ELi8ELi16ELi16ELi16ELi2ELi1ENS_8SequenceIJLi32ELi2ELi1EEEENSC_IJLi1ELi0ELi2EEEESE_Li2ELi8ELi8ELb0ELi0ENSC_IJLi16ELi4ELi1EEEESE_SE_Li2ELi16ELi16ELb0ELi0ELi1ELi1ENSC_IJLi1ELi16ELi1ELi4EEEELi4ELNS_26BlockGemmPipelineSchedulerE1ELNS_24BlockGemmPipelineVersionE0EDF16_DF16_Lb0ELb0ELb0ELi0ELb0EEELb0ELNS_25InMemoryDataOperationEnumE1ELi2ELNS_10TailNumberE10EEEvNT_8ArgumentE.has_dyn_sized_stack, 0
	.set _ZN2ck27kernel_gemm_xdl_cshuffle_v3INS_28GridwiseGemm_xdl_cshuffle_v3INS_13tensor_layout4gemm8RowMajorENS3_11ColumnMajorES4_DF16_NS_9f8_fnuz_tEfDF16_DF16_NS_16tensor_operation12element_wise11PassThroughES9_S9_LNS7_6device18GemmSpecializationE0ELi64ELi32ELi32ELi256ELi8ELi16ELi16ELi16ELi2ELi1ENS_8SequenceIJLi32ELi2ELi1EEEENSC_IJLi1ELi0ELi2EEEESE_Li2ELi8ELi8ELb0ELi0ENSC_IJLi16ELi4ELi1EEEESE_SE_Li2ELi16ELi16ELb0ELi0ELi1ELi1ENSC_IJLi1ELi16ELi1ELi4EEEELi4ELNS_26BlockGemmPipelineSchedulerE1ELNS_24BlockGemmPipelineVersionE0EDF16_DF16_Lb0ELb0ELb0ELi0ELb0EEELb0ELNS_25InMemoryDataOperationEnumE1ELi2ELNS_10TailNumberE10EEEvNT_8ArgumentE.has_recursion, 0
	.set _ZN2ck27kernel_gemm_xdl_cshuffle_v3INS_28GridwiseGemm_xdl_cshuffle_v3INS_13tensor_layout4gemm8RowMajorENS3_11ColumnMajorES4_DF16_NS_9f8_fnuz_tEfDF16_DF16_NS_16tensor_operation12element_wise11PassThroughES9_S9_LNS7_6device18GemmSpecializationE0ELi64ELi32ELi32ELi256ELi8ELi16ELi16ELi16ELi2ELi1ENS_8SequenceIJLi32ELi2ELi1EEEENSC_IJLi1ELi0ELi2EEEESE_Li2ELi8ELi8ELb0ELi0ENSC_IJLi16ELi4ELi1EEEESE_SE_Li2ELi16ELi16ELb0ELi0ELi1ELi1ENSC_IJLi1ELi16ELi1ELi4EEEELi4ELNS_26BlockGemmPipelineSchedulerE1ELNS_24BlockGemmPipelineVersionE0EDF16_DF16_Lb0ELb0ELb0ELi0ELb0EEELb0ELNS_25InMemoryDataOperationEnumE1ELi2ELNS_10TailNumberE10EEEvNT_8ArgumentE.has_indirect_call, 0
	.section	.AMDGPU.csdata,"",@progbits
; Kernel info:
; codeLenInByte = 4
; TotalNumSgprs: 6
; NumVgprs: 0
; NumAgprs: 0
; TotalNumVgprs: 0
; ScratchSize: 0
; MemoryBound: 0
; FloatMode: 240
; IeeeMode: 1
; LDSByteSize: 0 bytes/workgroup (compile time only)
; SGPRBlocks: 0
; VGPRBlocks: 0
; NumSGPRsForWavesPerEU: 6
; NumVGPRsForWavesPerEU: 1
; AccumOffset: 4
; Occupancy: 8
; WaveLimiterHint : 0
; COMPUTE_PGM_RSRC2:SCRATCH_EN: 0
; COMPUTE_PGM_RSRC2:USER_SGPR: 2
; COMPUTE_PGM_RSRC2:TRAP_HANDLER: 0
; COMPUTE_PGM_RSRC2:TGID_X_EN: 1
; COMPUTE_PGM_RSRC2:TGID_Y_EN: 0
; COMPUTE_PGM_RSRC2:TGID_Z_EN: 0
; COMPUTE_PGM_RSRC2:TIDIG_COMP_CNT: 0
; COMPUTE_PGM_RSRC3_GFX90A:ACCUM_OFFSET: 0
; COMPUTE_PGM_RSRC3_GFX90A:TG_SPLIT: 0
	.section	.text._ZN2ck27kernel_gemm_xdl_cshuffle_v3INS_28GridwiseGemm_xdl_cshuffle_v3INS_13tensor_layout4gemm8RowMajorENS3_11ColumnMajorES4_DF16_NS_9f8_fnuz_tEfDF16_DF16_NS_16tensor_operation12element_wise11PassThroughES9_S9_LNS7_6device18GemmSpecializationE0ELi64ELi32ELi32ELi256ELi8ELi16ELi16ELi16ELi2ELi1ENS_8SequenceIJLi32ELi2ELi1EEEENSC_IJLi1ELi0ELi2EEEESE_Li2ELi8ELi8ELb0ELi0ENSC_IJLi16ELi4ELi1EEEESE_SE_Li2ELi16ELi16ELb0ELi0ELi1ELi1ENSC_IJLi1ELi16ELi1ELi4EEEELi4ELNS_26BlockGemmPipelineSchedulerE1ELNS_24BlockGemmPipelineVersionE0EDF16_DF16_Lb0ELb0ELb0ELi0ELb0EEELb0ELNS_25InMemoryDataOperationEnumE0ELi2ELNS_10TailNumberE10EEEvNT_8ArgumentE,"axG",@progbits,_ZN2ck27kernel_gemm_xdl_cshuffle_v3INS_28GridwiseGemm_xdl_cshuffle_v3INS_13tensor_layout4gemm8RowMajorENS3_11ColumnMajorES4_DF16_NS_9f8_fnuz_tEfDF16_DF16_NS_16tensor_operation12element_wise11PassThroughES9_S9_LNS7_6device18GemmSpecializationE0ELi64ELi32ELi32ELi256ELi8ELi16ELi16ELi16ELi2ELi1ENS_8SequenceIJLi32ELi2ELi1EEEENSC_IJLi1ELi0ELi2EEEESE_Li2ELi8ELi8ELb0ELi0ENSC_IJLi16ELi4ELi1EEEESE_SE_Li2ELi16ELi16ELb0ELi0ELi1ELi1ENSC_IJLi1ELi16ELi1ELi4EEEELi4ELNS_26BlockGemmPipelineSchedulerE1ELNS_24BlockGemmPipelineVersionE0EDF16_DF16_Lb0ELb0ELb0ELi0ELb0EEELb0ELNS_25InMemoryDataOperationEnumE0ELi2ELNS_10TailNumberE10EEEvNT_8ArgumentE,comdat
	.protected	_ZN2ck27kernel_gemm_xdl_cshuffle_v3INS_28GridwiseGemm_xdl_cshuffle_v3INS_13tensor_layout4gemm8RowMajorENS3_11ColumnMajorES4_DF16_NS_9f8_fnuz_tEfDF16_DF16_NS_16tensor_operation12element_wise11PassThroughES9_S9_LNS7_6device18GemmSpecializationE0ELi64ELi32ELi32ELi256ELi8ELi16ELi16ELi16ELi2ELi1ENS_8SequenceIJLi32ELi2ELi1EEEENSC_IJLi1ELi0ELi2EEEESE_Li2ELi8ELi8ELb0ELi0ENSC_IJLi16ELi4ELi1EEEESE_SE_Li2ELi16ELi16ELb0ELi0ELi1ELi1ENSC_IJLi1ELi16ELi1ELi4EEEELi4ELNS_26BlockGemmPipelineSchedulerE1ELNS_24BlockGemmPipelineVersionE0EDF16_DF16_Lb0ELb0ELb0ELi0ELb0EEELb0ELNS_25InMemoryDataOperationEnumE0ELi2ELNS_10TailNumberE10EEEvNT_8ArgumentE ; -- Begin function _ZN2ck27kernel_gemm_xdl_cshuffle_v3INS_28GridwiseGemm_xdl_cshuffle_v3INS_13tensor_layout4gemm8RowMajorENS3_11ColumnMajorES4_DF16_NS_9f8_fnuz_tEfDF16_DF16_NS_16tensor_operation12element_wise11PassThroughES9_S9_LNS7_6device18GemmSpecializationE0ELi64ELi32ELi32ELi256ELi8ELi16ELi16ELi16ELi2ELi1ENS_8SequenceIJLi32ELi2ELi1EEEENSC_IJLi1ELi0ELi2EEEESE_Li2ELi8ELi8ELb0ELi0ENSC_IJLi16ELi4ELi1EEEESE_SE_Li2ELi16ELi16ELb0ELi0ELi1ELi1ENSC_IJLi1ELi16ELi1ELi4EEEELi4ELNS_26BlockGemmPipelineSchedulerE1ELNS_24BlockGemmPipelineVersionE0EDF16_DF16_Lb0ELb0ELb0ELi0ELb0EEELb0ELNS_25InMemoryDataOperationEnumE0ELi2ELNS_10TailNumberE10EEEvNT_8ArgumentE
	.globl	_ZN2ck27kernel_gemm_xdl_cshuffle_v3INS_28GridwiseGemm_xdl_cshuffle_v3INS_13tensor_layout4gemm8RowMajorENS3_11ColumnMajorES4_DF16_NS_9f8_fnuz_tEfDF16_DF16_NS_16tensor_operation12element_wise11PassThroughES9_S9_LNS7_6device18GemmSpecializationE0ELi64ELi32ELi32ELi256ELi8ELi16ELi16ELi16ELi2ELi1ENS_8SequenceIJLi32ELi2ELi1EEEENSC_IJLi1ELi0ELi2EEEESE_Li2ELi8ELi8ELb0ELi0ENSC_IJLi16ELi4ELi1EEEESE_SE_Li2ELi16ELi16ELb0ELi0ELi1ELi1ENSC_IJLi1ELi16ELi1ELi4EEEELi4ELNS_26BlockGemmPipelineSchedulerE1ELNS_24BlockGemmPipelineVersionE0EDF16_DF16_Lb0ELb0ELb0ELi0ELb0EEELb0ELNS_25InMemoryDataOperationEnumE0ELi2ELNS_10TailNumberE10EEEvNT_8ArgumentE
	.p2align	8
	.type	_ZN2ck27kernel_gemm_xdl_cshuffle_v3INS_28GridwiseGemm_xdl_cshuffle_v3INS_13tensor_layout4gemm8RowMajorENS3_11ColumnMajorES4_DF16_NS_9f8_fnuz_tEfDF16_DF16_NS_16tensor_operation12element_wise11PassThroughES9_S9_LNS7_6device18GemmSpecializationE0ELi64ELi32ELi32ELi256ELi8ELi16ELi16ELi16ELi2ELi1ENS_8SequenceIJLi32ELi2ELi1EEEENSC_IJLi1ELi0ELi2EEEESE_Li2ELi8ELi8ELb0ELi0ENSC_IJLi16ELi4ELi1EEEESE_SE_Li2ELi16ELi16ELb0ELi0ELi1ELi1ENSC_IJLi1ELi16ELi1ELi4EEEELi4ELNS_26BlockGemmPipelineSchedulerE1ELNS_24BlockGemmPipelineVersionE0EDF16_DF16_Lb0ELb0ELb0ELi0ELb0EEELb0ELNS_25InMemoryDataOperationEnumE0ELi2ELNS_10TailNumberE10EEEvNT_8ArgumentE,@function
_ZN2ck27kernel_gemm_xdl_cshuffle_v3INS_28GridwiseGemm_xdl_cshuffle_v3INS_13tensor_layout4gemm8RowMajorENS3_11ColumnMajorES4_DF16_NS_9f8_fnuz_tEfDF16_DF16_NS_16tensor_operation12element_wise11PassThroughES9_S9_LNS7_6device18GemmSpecializationE0ELi64ELi32ELi32ELi256ELi8ELi16ELi16ELi16ELi2ELi1ENS_8SequenceIJLi32ELi2ELi1EEEENSC_IJLi1ELi0ELi2EEEESE_Li2ELi8ELi8ELb0ELi0ENSC_IJLi16ELi4ELi1EEEESE_SE_Li2ELi16ELi16ELb0ELi0ELi1ELi1ENSC_IJLi1ELi16ELi1ELi4EEEELi4ELNS_26BlockGemmPipelineSchedulerE1ELNS_24BlockGemmPipelineVersionE0EDF16_DF16_Lb0ELb0ELb0ELi0ELb0EEELb0ELNS_25InMemoryDataOperationEnumE0ELi2ELNS_10TailNumberE10EEEvNT_8ArgumentE: ; @_ZN2ck27kernel_gemm_xdl_cshuffle_v3INS_28GridwiseGemm_xdl_cshuffle_v3INS_13tensor_layout4gemm8RowMajorENS3_11ColumnMajorES4_DF16_NS_9f8_fnuz_tEfDF16_DF16_NS_16tensor_operation12element_wise11PassThroughES9_S9_LNS7_6device18GemmSpecializationE0ELi64ELi32ELi32ELi256ELi8ELi16ELi16ELi16ELi2ELi1ENS_8SequenceIJLi32ELi2ELi1EEEENSC_IJLi1ELi0ELi2EEEESE_Li2ELi8ELi8ELb0ELi0ENSC_IJLi16ELi4ELi1EEEESE_SE_Li2ELi16ELi16ELb0ELi0ELi1ELi1ENSC_IJLi1ELi16ELi1ELi4EEEELi4ELNS_26BlockGemmPipelineSchedulerE1ELNS_24BlockGemmPipelineVersionE0EDF16_DF16_Lb0ELb0ELb0ELi0ELb0EEELb0ELNS_25InMemoryDataOperationEnumE0ELi2ELNS_10TailNumberE10EEEvNT_8ArgumentE
; %bb.0:
	s_endpgm
	.section	.rodata,"a",@progbits
	.p2align	6, 0x0
	.amdhsa_kernel _ZN2ck27kernel_gemm_xdl_cshuffle_v3INS_28GridwiseGemm_xdl_cshuffle_v3INS_13tensor_layout4gemm8RowMajorENS3_11ColumnMajorES4_DF16_NS_9f8_fnuz_tEfDF16_DF16_NS_16tensor_operation12element_wise11PassThroughES9_S9_LNS7_6device18GemmSpecializationE0ELi64ELi32ELi32ELi256ELi8ELi16ELi16ELi16ELi2ELi1ENS_8SequenceIJLi32ELi2ELi1EEEENSC_IJLi1ELi0ELi2EEEESE_Li2ELi8ELi8ELb0ELi0ENSC_IJLi16ELi4ELi1EEEESE_SE_Li2ELi16ELi16ELb0ELi0ELi1ELi1ENSC_IJLi1ELi16ELi1ELi4EEEELi4ELNS_26BlockGemmPipelineSchedulerE1ELNS_24BlockGemmPipelineVersionE0EDF16_DF16_Lb0ELb0ELb0ELi0ELb0EEELb0ELNS_25InMemoryDataOperationEnumE0ELi2ELNS_10TailNumberE10EEEvNT_8ArgumentE
		.amdhsa_group_segment_fixed_size 0
		.amdhsa_private_segment_fixed_size 0
		.amdhsa_kernarg_size 112
		.amdhsa_user_sgpr_count 2
		.amdhsa_user_sgpr_dispatch_ptr 0
		.amdhsa_user_sgpr_queue_ptr 0
		.amdhsa_user_sgpr_kernarg_segment_ptr 1
		.amdhsa_user_sgpr_dispatch_id 0
		.amdhsa_user_sgpr_kernarg_preload_length 0
		.amdhsa_user_sgpr_kernarg_preload_offset 0
		.amdhsa_user_sgpr_private_segment_size 0
		.amdhsa_uses_dynamic_stack 0
		.amdhsa_enable_private_segment 0
		.amdhsa_system_sgpr_workgroup_id_x 1
		.amdhsa_system_sgpr_workgroup_id_y 0
		.amdhsa_system_sgpr_workgroup_id_z 0
		.amdhsa_system_sgpr_workgroup_info 0
		.amdhsa_system_vgpr_workitem_id 0
		.amdhsa_next_free_vgpr 1
		.amdhsa_next_free_sgpr 0
		.amdhsa_accum_offset 4
		.amdhsa_reserve_vcc 0
		.amdhsa_float_round_mode_32 0
		.amdhsa_float_round_mode_16_64 0
		.amdhsa_float_denorm_mode_32 3
		.amdhsa_float_denorm_mode_16_64 3
		.amdhsa_dx10_clamp 1
		.amdhsa_ieee_mode 1
		.amdhsa_fp16_overflow 0
		.amdhsa_tg_split 0
		.amdhsa_exception_fp_ieee_invalid_op 0
		.amdhsa_exception_fp_denorm_src 0
		.amdhsa_exception_fp_ieee_div_zero 0
		.amdhsa_exception_fp_ieee_overflow 0
		.amdhsa_exception_fp_ieee_underflow 0
		.amdhsa_exception_fp_ieee_inexact 0
		.amdhsa_exception_int_div_zero 0
	.end_amdhsa_kernel
	.section	.text._ZN2ck27kernel_gemm_xdl_cshuffle_v3INS_28GridwiseGemm_xdl_cshuffle_v3INS_13tensor_layout4gemm8RowMajorENS3_11ColumnMajorES4_DF16_NS_9f8_fnuz_tEfDF16_DF16_NS_16tensor_operation12element_wise11PassThroughES9_S9_LNS7_6device18GemmSpecializationE0ELi64ELi32ELi32ELi256ELi8ELi16ELi16ELi16ELi2ELi1ENS_8SequenceIJLi32ELi2ELi1EEEENSC_IJLi1ELi0ELi2EEEESE_Li2ELi8ELi8ELb0ELi0ENSC_IJLi16ELi4ELi1EEEESE_SE_Li2ELi16ELi16ELb0ELi0ELi1ELi1ENSC_IJLi1ELi16ELi1ELi4EEEELi4ELNS_26BlockGemmPipelineSchedulerE1ELNS_24BlockGemmPipelineVersionE0EDF16_DF16_Lb0ELb0ELb0ELi0ELb0EEELb0ELNS_25InMemoryDataOperationEnumE0ELi2ELNS_10TailNumberE10EEEvNT_8ArgumentE,"axG",@progbits,_ZN2ck27kernel_gemm_xdl_cshuffle_v3INS_28GridwiseGemm_xdl_cshuffle_v3INS_13tensor_layout4gemm8RowMajorENS3_11ColumnMajorES4_DF16_NS_9f8_fnuz_tEfDF16_DF16_NS_16tensor_operation12element_wise11PassThroughES9_S9_LNS7_6device18GemmSpecializationE0ELi64ELi32ELi32ELi256ELi8ELi16ELi16ELi16ELi2ELi1ENS_8SequenceIJLi32ELi2ELi1EEEENSC_IJLi1ELi0ELi2EEEESE_Li2ELi8ELi8ELb0ELi0ENSC_IJLi16ELi4ELi1EEEESE_SE_Li2ELi16ELi16ELb0ELi0ELi1ELi1ENSC_IJLi1ELi16ELi1ELi4EEEELi4ELNS_26BlockGemmPipelineSchedulerE1ELNS_24BlockGemmPipelineVersionE0EDF16_DF16_Lb0ELb0ELb0ELi0ELb0EEELb0ELNS_25InMemoryDataOperationEnumE0ELi2ELNS_10TailNumberE10EEEvNT_8ArgumentE,comdat
.Lfunc_end8:
	.size	_ZN2ck27kernel_gemm_xdl_cshuffle_v3INS_28GridwiseGemm_xdl_cshuffle_v3INS_13tensor_layout4gemm8RowMajorENS3_11ColumnMajorES4_DF16_NS_9f8_fnuz_tEfDF16_DF16_NS_16tensor_operation12element_wise11PassThroughES9_S9_LNS7_6device18GemmSpecializationE0ELi64ELi32ELi32ELi256ELi8ELi16ELi16ELi16ELi2ELi1ENS_8SequenceIJLi32ELi2ELi1EEEENSC_IJLi1ELi0ELi2EEEESE_Li2ELi8ELi8ELb0ELi0ENSC_IJLi16ELi4ELi1EEEESE_SE_Li2ELi16ELi16ELb0ELi0ELi1ELi1ENSC_IJLi1ELi16ELi1ELi4EEEELi4ELNS_26BlockGemmPipelineSchedulerE1ELNS_24BlockGemmPipelineVersionE0EDF16_DF16_Lb0ELb0ELb0ELi0ELb0EEELb0ELNS_25InMemoryDataOperationEnumE0ELi2ELNS_10TailNumberE10EEEvNT_8ArgumentE, .Lfunc_end8-_ZN2ck27kernel_gemm_xdl_cshuffle_v3INS_28GridwiseGemm_xdl_cshuffle_v3INS_13tensor_layout4gemm8RowMajorENS3_11ColumnMajorES4_DF16_NS_9f8_fnuz_tEfDF16_DF16_NS_16tensor_operation12element_wise11PassThroughES9_S9_LNS7_6device18GemmSpecializationE0ELi64ELi32ELi32ELi256ELi8ELi16ELi16ELi16ELi2ELi1ENS_8SequenceIJLi32ELi2ELi1EEEENSC_IJLi1ELi0ELi2EEEESE_Li2ELi8ELi8ELb0ELi0ENSC_IJLi16ELi4ELi1EEEESE_SE_Li2ELi16ELi16ELb0ELi0ELi1ELi1ENSC_IJLi1ELi16ELi1ELi4EEEELi4ELNS_26BlockGemmPipelineSchedulerE1ELNS_24BlockGemmPipelineVersionE0EDF16_DF16_Lb0ELb0ELb0ELi0ELb0EEELb0ELNS_25InMemoryDataOperationEnumE0ELi2ELNS_10TailNumberE10EEEvNT_8ArgumentE
                                        ; -- End function
	.set _ZN2ck27kernel_gemm_xdl_cshuffle_v3INS_28GridwiseGemm_xdl_cshuffle_v3INS_13tensor_layout4gemm8RowMajorENS3_11ColumnMajorES4_DF16_NS_9f8_fnuz_tEfDF16_DF16_NS_16tensor_operation12element_wise11PassThroughES9_S9_LNS7_6device18GemmSpecializationE0ELi64ELi32ELi32ELi256ELi8ELi16ELi16ELi16ELi2ELi1ENS_8SequenceIJLi32ELi2ELi1EEEENSC_IJLi1ELi0ELi2EEEESE_Li2ELi8ELi8ELb0ELi0ENSC_IJLi16ELi4ELi1EEEESE_SE_Li2ELi16ELi16ELb0ELi0ELi1ELi1ENSC_IJLi1ELi16ELi1ELi4EEEELi4ELNS_26BlockGemmPipelineSchedulerE1ELNS_24BlockGemmPipelineVersionE0EDF16_DF16_Lb0ELb0ELb0ELi0ELb0EEELb0ELNS_25InMemoryDataOperationEnumE0ELi2ELNS_10TailNumberE10EEEvNT_8ArgumentE.num_vgpr, 0
	.set _ZN2ck27kernel_gemm_xdl_cshuffle_v3INS_28GridwiseGemm_xdl_cshuffle_v3INS_13tensor_layout4gemm8RowMajorENS3_11ColumnMajorES4_DF16_NS_9f8_fnuz_tEfDF16_DF16_NS_16tensor_operation12element_wise11PassThroughES9_S9_LNS7_6device18GemmSpecializationE0ELi64ELi32ELi32ELi256ELi8ELi16ELi16ELi16ELi2ELi1ENS_8SequenceIJLi32ELi2ELi1EEEENSC_IJLi1ELi0ELi2EEEESE_Li2ELi8ELi8ELb0ELi0ENSC_IJLi16ELi4ELi1EEEESE_SE_Li2ELi16ELi16ELb0ELi0ELi1ELi1ENSC_IJLi1ELi16ELi1ELi4EEEELi4ELNS_26BlockGemmPipelineSchedulerE1ELNS_24BlockGemmPipelineVersionE0EDF16_DF16_Lb0ELb0ELb0ELi0ELb0EEELb0ELNS_25InMemoryDataOperationEnumE0ELi2ELNS_10TailNumberE10EEEvNT_8ArgumentE.num_agpr, 0
	.set _ZN2ck27kernel_gemm_xdl_cshuffle_v3INS_28GridwiseGemm_xdl_cshuffle_v3INS_13tensor_layout4gemm8RowMajorENS3_11ColumnMajorES4_DF16_NS_9f8_fnuz_tEfDF16_DF16_NS_16tensor_operation12element_wise11PassThroughES9_S9_LNS7_6device18GemmSpecializationE0ELi64ELi32ELi32ELi256ELi8ELi16ELi16ELi16ELi2ELi1ENS_8SequenceIJLi32ELi2ELi1EEEENSC_IJLi1ELi0ELi2EEEESE_Li2ELi8ELi8ELb0ELi0ENSC_IJLi16ELi4ELi1EEEESE_SE_Li2ELi16ELi16ELb0ELi0ELi1ELi1ENSC_IJLi1ELi16ELi1ELi4EEEELi4ELNS_26BlockGemmPipelineSchedulerE1ELNS_24BlockGemmPipelineVersionE0EDF16_DF16_Lb0ELb0ELb0ELi0ELb0EEELb0ELNS_25InMemoryDataOperationEnumE0ELi2ELNS_10TailNumberE10EEEvNT_8ArgumentE.numbered_sgpr, 0
	.set _ZN2ck27kernel_gemm_xdl_cshuffle_v3INS_28GridwiseGemm_xdl_cshuffle_v3INS_13tensor_layout4gemm8RowMajorENS3_11ColumnMajorES4_DF16_NS_9f8_fnuz_tEfDF16_DF16_NS_16tensor_operation12element_wise11PassThroughES9_S9_LNS7_6device18GemmSpecializationE0ELi64ELi32ELi32ELi256ELi8ELi16ELi16ELi16ELi2ELi1ENS_8SequenceIJLi32ELi2ELi1EEEENSC_IJLi1ELi0ELi2EEEESE_Li2ELi8ELi8ELb0ELi0ENSC_IJLi16ELi4ELi1EEEESE_SE_Li2ELi16ELi16ELb0ELi0ELi1ELi1ENSC_IJLi1ELi16ELi1ELi4EEEELi4ELNS_26BlockGemmPipelineSchedulerE1ELNS_24BlockGemmPipelineVersionE0EDF16_DF16_Lb0ELb0ELb0ELi0ELb0EEELb0ELNS_25InMemoryDataOperationEnumE0ELi2ELNS_10TailNumberE10EEEvNT_8ArgumentE.num_named_barrier, 0
	.set _ZN2ck27kernel_gemm_xdl_cshuffle_v3INS_28GridwiseGemm_xdl_cshuffle_v3INS_13tensor_layout4gemm8RowMajorENS3_11ColumnMajorES4_DF16_NS_9f8_fnuz_tEfDF16_DF16_NS_16tensor_operation12element_wise11PassThroughES9_S9_LNS7_6device18GemmSpecializationE0ELi64ELi32ELi32ELi256ELi8ELi16ELi16ELi16ELi2ELi1ENS_8SequenceIJLi32ELi2ELi1EEEENSC_IJLi1ELi0ELi2EEEESE_Li2ELi8ELi8ELb0ELi0ENSC_IJLi16ELi4ELi1EEEESE_SE_Li2ELi16ELi16ELb0ELi0ELi1ELi1ENSC_IJLi1ELi16ELi1ELi4EEEELi4ELNS_26BlockGemmPipelineSchedulerE1ELNS_24BlockGemmPipelineVersionE0EDF16_DF16_Lb0ELb0ELb0ELi0ELb0EEELb0ELNS_25InMemoryDataOperationEnumE0ELi2ELNS_10TailNumberE10EEEvNT_8ArgumentE.private_seg_size, 0
	.set _ZN2ck27kernel_gemm_xdl_cshuffle_v3INS_28GridwiseGemm_xdl_cshuffle_v3INS_13tensor_layout4gemm8RowMajorENS3_11ColumnMajorES4_DF16_NS_9f8_fnuz_tEfDF16_DF16_NS_16tensor_operation12element_wise11PassThroughES9_S9_LNS7_6device18GemmSpecializationE0ELi64ELi32ELi32ELi256ELi8ELi16ELi16ELi16ELi2ELi1ENS_8SequenceIJLi32ELi2ELi1EEEENSC_IJLi1ELi0ELi2EEEESE_Li2ELi8ELi8ELb0ELi0ENSC_IJLi16ELi4ELi1EEEESE_SE_Li2ELi16ELi16ELb0ELi0ELi1ELi1ENSC_IJLi1ELi16ELi1ELi4EEEELi4ELNS_26BlockGemmPipelineSchedulerE1ELNS_24BlockGemmPipelineVersionE0EDF16_DF16_Lb0ELb0ELb0ELi0ELb0EEELb0ELNS_25InMemoryDataOperationEnumE0ELi2ELNS_10TailNumberE10EEEvNT_8ArgumentE.uses_vcc, 0
	.set _ZN2ck27kernel_gemm_xdl_cshuffle_v3INS_28GridwiseGemm_xdl_cshuffle_v3INS_13tensor_layout4gemm8RowMajorENS3_11ColumnMajorES4_DF16_NS_9f8_fnuz_tEfDF16_DF16_NS_16tensor_operation12element_wise11PassThroughES9_S9_LNS7_6device18GemmSpecializationE0ELi64ELi32ELi32ELi256ELi8ELi16ELi16ELi16ELi2ELi1ENS_8SequenceIJLi32ELi2ELi1EEEENSC_IJLi1ELi0ELi2EEEESE_Li2ELi8ELi8ELb0ELi0ENSC_IJLi16ELi4ELi1EEEESE_SE_Li2ELi16ELi16ELb0ELi0ELi1ELi1ENSC_IJLi1ELi16ELi1ELi4EEEELi4ELNS_26BlockGemmPipelineSchedulerE1ELNS_24BlockGemmPipelineVersionE0EDF16_DF16_Lb0ELb0ELb0ELi0ELb0EEELb0ELNS_25InMemoryDataOperationEnumE0ELi2ELNS_10TailNumberE10EEEvNT_8ArgumentE.uses_flat_scratch, 0
	.set _ZN2ck27kernel_gemm_xdl_cshuffle_v3INS_28GridwiseGemm_xdl_cshuffle_v3INS_13tensor_layout4gemm8RowMajorENS3_11ColumnMajorES4_DF16_NS_9f8_fnuz_tEfDF16_DF16_NS_16tensor_operation12element_wise11PassThroughES9_S9_LNS7_6device18GemmSpecializationE0ELi64ELi32ELi32ELi256ELi8ELi16ELi16ELi16ELi2ELi1ENS_8SequenceIJLi32ELi2ELi1EEEENSC_IJLi1ELi0ELi2EEEESE_Li2ELi8ELi8ELb0ELi0ENSC_IJLi16ELi4ELi1EEEESE_SE_Li2ELi16ELi16ELb0ELi0ELi1ELi1ENSC_IJLi1ELi16ELi1ELi4EEEELi4ELNS_26BlockGemmPipelineSchedulerE1ELNS_24BlockGemmPipelineVersionE0EDF16_DF16_Lb0ELb0ELb0ELi0ELb0EEELb0ELNS_25InMemoryDataOperationEnumE0ELi2ELNS_10TailNumberE10EEEvNT_8ArgumentE.has_dyn_sized_stack, 0
	.set _ZN2ck27kernel_gemm_xdl_cshuffle_v3INS_28GridwiseGemm_xdl_cshuffle_v3INS_13tensor_layout4gemm8RowMajorENS3_11ColumnMajorES4_DF16_NS_9f8_fnuz_tEfDF16_DF16_NS_16tensor_operation12element_wise11PassThroughES9_S9_LNS7_6device18GemmSpecializationE0ELi64ELi32ELi32ELi256ELi8ELi16ELi16ELi16ELi2ELi1ENS_8SequenceIJLi32ELi2ELi1EEEENSC_IJLi1ELi0ELi2EEEESE_Li2ELi8ELi8ELb0ELi0ENSC_IJLi16ELi4ELi1EEEESE_SE_Li2ELi16ELi16ELb0ELi0ELi1ELi1ENSC_IJLi1ELi16ELi1ELi4EEEELi4ELNS_26BlockGemmPipelineSchedulerE1ELNS_24BlockGemmPipelineVersionE0EDF16_DF16_Lb0ELb0ELb0ELi0ELb0EEELb0ELNS_25InMemoryDataOperationEnumE0ELi2ELNS_10TailNumberE10EEEvNT_8ArgumentE.has_recursion, 0
	.set _ZN2ck27kernel_gemm_xdl_cshuffle_v3INS_28GridwiseGemm_xdl_cshuffle_v3INS_13tensor_layout4gemm8RowMajorENS3_11ColumnMajorES4_DF16_NS_9f8_fnuz_tEfDF16_DF16_NS_16tensor_operation12element_wise11PassThroughES9_S9_LNS7_6device18GemmSpecializationE0ELi64ELi32ELi32ELi256ELi8ELi16ELi16ELi16ELi2ELi1ENS_8SequenceIJLi32ELi2ELi1EEEENSC_IJLi1ELi0ELi2EEEESE_Li2ELi8ELi8ELb0ELi0ENSC_IJLi16ELi4ELi1EEEESE_SE_Li2ELi16ELi16ELb0ELi0ELi1ELi1ENSC_IJLi1ELi16ELi1ELi4EEEELi4ELNS_26BlockGemmPipelineSchedulerE1ELNS_24BlockGemmPipelineVersionE0EDF16_DF16_Lb0ELb0ELb0ELi0ELb0EEELb0ELNS_25InMemoryDataOperationEnumE0ELi2ELNS_10TailNumberE10EEEvNT_8ArgumentE.has_indirect_call, 0
	.section	.AMDGPU.csdata,"",@progbits
; Kernel info:
; codeLenInByte = 4
; TotalNumSgprs: 6
; NumVgprs: 0
; NumAgprs: 0
; TotalNumVgprs: 0
; ScratchSize: 0
; MemoryBound: 0
; FloatMode: 240
; IeeeMode: 1
; LDSByteSize: 0 bytes/workgroup (compile time only)
; SGPRBlocks: 0
; VGPRBlocks: 0
; NumSGPRsForWavesPerEU: 6
; NumVGPRsForWavesPerEU: 1
; AccumOffset: 4
; Occupancy: 8
; WaveLimiterHint : 0
; COMPUTE_PGM_RSRC2:SCRATCH_EN: 0
; COMPUTE_PGM_RSRC2:USER_SGPR: 2
; COMPUTE_PGM_RSRC2:TRAP_HANDLER: 0
; COMPUTE_PGM_RSRC2:TGID_X_EN: 1
; COMPUTE_PGM_RSRC2:TGID_Y_EN: 0
; COMPUTE_PGM_RSRC2:TGID_Z_EN: 0
; COMPUTE_PGM_RSRC2:TIDIG_COMP_CNT: 0
; COMPUTE_PGM_RSRC3_GFX90A:ACCUM_OFFSET: 0
; COMPUTE_PGM_RSRC3_GFX90A:TG_SPLIT: 0
	.section	.AMDGPU.gpr_maximums,"",@progbits
	.set amdgpu.max_num_vgpr, 0
	.set amdgpu.max_num_agpr, 0
	.set amdgpu.max_num_sgpr, 0
	.section	.AMDGPU.csdata,"",@progbits
	.type	__hip_cuid_b7326a7233cf5e17,@object ; @__hip_cuid_b7326a7233cf5e17
	.section	.bss,"aw",@nobits
	.globl	__hip_cuid_b7326a7233cf5e17
__hip_cuid_b7326a7233cf5e17:
	.byte	0                               ; 0x0
	.size	__hip_cuid_b7326a7233cf5e17, 1

	.ident	"AMD clang version 22.0.0git (https://github.com/RadeonOpenCompute/llvm-project roc-7.2.4 26084 f58b06dce1f9c15707c5f808fd002e18c2accf7e)"
	.section	".note.GNU-stack","",@progbits
	.addrsig
	.addrsig_sym __hip_cuid_b7326a7233cf5e17
	.amdgpu_metadata
---
amdhsa.kernels:
  - .agpr_count:     0
    .args:           []
    .group_segment_fixed_size: 0
    .kernarg_segment_align: 4
    .kernarg_segment_size: 0
    .language:       OpenCL C
    .language_version:
      - 2
      - 0
    .max_flat_workgroup_size: 1024
    .name:           _ZN2ckL12flush_icacheEv
    .private_segment_fixed_size: 0
    .sgpr_count:     6
    .sgpr_spill_count: 0
    .symbol:         _ZN2ckL12flush_icacheEv.kd
    .uniform_work_group_size: 1
    .uses_dynamic_stack: false
    .vgpr_count:     0
    .vgpr_spill_count: 0
    .wavefront_size: 64
  - .agpr_count:     0
    .args:
      - .offset:         0
        .size:           112
        .value_kind:     by_value
    .group_segment_fixed_size: 24576
    .kernarg_segment_align: 8
    .kernarg_segment_size: 112
    .language:       OpenCL C
    .language_version:
      - 2
      - 0
    .max_flat_workgroup_size: 64
    .name:           _ZN2ck27kernel_gemm_xdl_cshuffle_v3INS_28GridwiseGemm_xdl_cshuffle_v3INS_13tensor_layout4gemm8RowMajorENS3_11ColumnMajorES4_DF16_NS_9f8_fnuz_tEfDF16_DF16_NS_16tensor_operation12element_wise11PassThroughES9_S9_LNS7_6device18GemmSpecializationE0ELi64ELi32ELi32ELi256ELi8ELi16ELi16ELi16ELi2ELi2ENS_8SequenceIJLi32ELi2ELi1EEEENSC_IJLi1ELi0ELi2EEEESE_Li2ELi8ELi8ELb0ELi0ENSC_IJLi16ELi4ELi1EEEESE_SE_Li2ELi16ELi16ELb0ELi0ELi1ELi1ENSC_IJLi1ELi16ELi1ELi4EEEELi4ELNS_26BlockGemmPipelineSchedulerE1ELNS_24BlockGemmPipelineVersionE0EDF16_DF16_Lb0ELb0ELb0ELi0ELb0EEELb1ELNS_25InMemoryDataOperationEnumE1ELi2ELNS_10TailNumberE10EEEvNT_8ArgumentE
    .private_segment_fixed_size: 248
    .sgpr_count:     35
    .sgpr_spill_count: 0
    .symbol:         _ZN2ck27kernel_gemm_xdl_cshuffle_v3INS_28GridwiseGemm_xdl_cshuffle_v3INS_13tensor_layout4gemm8RowMajorENS3_11ColumnMajorES4_DF16_NS_9f8_fnuz_tEfDF16_DF16_NS_16tensor_operation12element_wise11PassThroughES9_S9_LNS7_6device18GemmSpecializationE0ELi64ELi32ELi32ELi256ELi8ELi16ELi16ELi16ELi2ELi2ENS_8SequenceIJLi32ELi2ELi1EEEENSC_IJLi1ELi0ELi2EEEESE_Li2ELi8ELi8ELb0ELi0ENSC_IJLi16ELi4ELi1EEEESE_SE_Li2ELi16ELi16ELb0ELi0ELi1ELi1ENSC_IJLi1ELi16ELi1ELi4EEEELi4ELNS_26BlockGemmPipelineSchedulerE1ELNS_24BlockGemmPipelineVersionE0EDF16_DF16_Lb0ELb0ELb0ELi0ELb0EEELb1ELNS_25InMemoryDataOperationEnumE1ELi2ELNS_10TailNumberE10EEEvNT_8ArgumentE.kd
    .uniform_work_group_size: 1
    .uses_dynamic_stack: false
    .vgpr_count:     256
    .vgpr_spill_count: 61
    .wavefront_size: 64
  - .agpr_count:     0
    .args:
      - .offset:         0
        .size:           112
        .value_kind:     by_value
    .group_segment_fixed_size: 24576
    .kernarg_segment_align: 8
    .kernarg_segment_size: 112
    .language:       OpenCL C
    .language_version:
      - 2
      - 0
    .max_flat_workgroup_size: 64
    .name:           _ZN2ck27kernel_gemm_xdl_cshuffle_v3INS_28GridwiseGemm_xdl_cshuffle_v3INS_13tensor_layout4gemm8RowMajorENS3_11ColumnMajorES4_DF16_NS_9f8_fnuz_tEfDF16_DF16_NS_16tensor_operation12element_wise11PassThroughES9_S9_LNS7_6device18GemmSpecializationE0ELi64ELi32ELi32ELi256ELi8ELi16ELi16ELi16ELi2ELi2ENS_8SequenceIJLi32ELi2ELi1EEEENSC_IJLi1ELi0ELi2EEEESE_Li2ELi8ELi8ELb0ELi0ENSC_IJLi16ELi4ELi1EEEESE_SE_Li2ELi16ELi16ELb0ELi0ELi1ELi1ENSC_IJLi1ELi16ELi1ELi4EEEELi4ELNS_26BlockGemmPipelineSchedulerE1ELNS_24BlockGemmPipelineVersionE0EDF16_DF16_Lb0ELb0ELb0ELi0ELb0EEELb1ELNS_25InMemoryDataOperationEnumE0ELi2ELNS_10TailNumberE10EEEvNT_8ArgumentE
    .private_segment_fixed_size: 248
    .sgpr_count:     35
    .sgpr_spill_count: 0
    .symbol:         _ZN2ck27kernel_gemm_xdl_cshuffle_v3INS_28GridwiseGemm_xdl_cshuffle_v3INS_13tensor_layout4gemm8RowMajorENS3_11ColumnMajorES4_DF16_NS_9f8_fnuz_tEfDF16_DF16_NS_16tensor_operation12element_wise11PassThroughES9_S9_LNS7_6device18GemmSpecializationE0ELi64ELi32ELi32ELi256ELi8ELi16ELi16ELi16ELi2ELi2ENS_8SequenceIJLi32ELi2ELi1EEEENSC_IJLi1ELi0ELi2EEEESE_Li2ELi8ELi8ELb0ELi0ENSC_IJLi16ELi4ELi1EEEESE_SE_Li2ELi16ELi16ELb0ELi0ELi1ELi1ENSC_IJLi1ELi16ELi1ELi4EEEELi4ELNS_26BlockGemmPipelineSchedulerE1ELNS_24BlockGemmPipelineVersionE0EDF16_DF16_Lb0ELb0ELb0ELi0ELb0EEELb1ELNS_25InMemoryDataOperationEnumE0ELi2ELNS_10TailNumberE10EEEvNT_8ArgumentE.kd
    .uniform_work_group_size: 1
    .uses_dynamic_stack: false
    .vgpr_count:     256
    .vgpr_spill_count: 61
    .wavefront_size: 64
  - .agpr_count:     0
    .args:
      - .offset:         0
        .size:           112
        .value_kind:     by_value
    .group_segment_fixed_size: 24576
    .kernarg_segment_align: 8
    .kernarg_segment_size: 112
    .language:       OpenCL C
    .language_version:
      - 2
      - 0
    .max_flat_workgroup_size: 64
    .name:           _ZN2ck27kernel_gemm_xdl_cshuffle_v3INS_28GridwiseGemm_xdl_cshuffle_v3INS_13tensor_layout4gemm8RowMajorENS3_11ColumnMajorES4_DF16_NS_9f8_fnuz_tEfDF16_DF16_NS_16tensor_operation12element_wise11PassThroughES9_S9_LNS7_6device18GemmSpecializationE0ELi64ELi32ELi32ELi256ELi8ELi16ELi16ELi16ELi2ELi2ENS_8SequenceIJLi32ELi2ELi1EEEENSC_IJLi1ELi0ELi2EEEESE_Li2ELi8ELi8ELb0ELi0ENSC_IJLi16ELi4ELi1EEEESE_SE_Li2ELi16ELi16ELb0ELi0ELi1ELi1ENSC_IJLi1ELi16ELi1ELi4EEEELi4ELNS_26BlockGemmPipelineSchedulerE1ELNS_24BlockGemmPipelineVersionE0EDF16_DF16_Lb0ELb0ELb0ELi0ELb0EEELb0ELNS_25InMemoryDataOperationEnumE1ELi2ELNS_10TailNumberE10EEEvNT_8ArgumentE
    .private_segment_fixed_size: 0
    .sgpr_count:     34
    .sgpr_spill_count: 0
    .symbol:         _ZN2ck27kernel_gemm_xdl_cshuffle_v3INS_28GridwiseGemm_xdl_cshuffle_v3INS_13tensor_layout4gemm8RowMajorENS3_11ColumnMajorES4_DF16_NS_9f8_fnuz_tEfDF16_DF16_NS_16tensor_operation12element_wise11PassThroughES9_S9_LNS7_6device18GemmSpecializationE0ELi64ELi32ELi32ELi256ELi8ELi16ELi16ELi16ELi2ELi2ENS_8SequenceIJLi32ELi2ELi1EEEENSC_IJLi1ELi0ELi2EEEESE_Li2ELi8ELi8ELb0ELi0ENSC_IJLi16ELi4ELi1EEEESE_SE_Li2ELi16ELi16ELb0ELi0ELi1ELi1ENSC_IJLi1ELi16ELi1ELi4EEEELi4ELNS_26BlockGemmPipelineSchedulerE1ELNS_24BlockGemmPipelineVersionE0EDF16_DF16_Lb0ELb0ELb0ELi0ELb0EEELb0ELNS_25InMemoryDataOperationEnumE1ELi2ELNS_10TailNumberE10EEEvNT_8ArgumentE.kd
    .uniform_work_group_size: 1
    .uses_dynamic_stack: false
    .vgpr_count:     138
    .vgpr_spill_count: 0
    .wavefront_size: 64
  - .agpr_count:     0
    .args:
      - .offset:         0
        .size:           112
        .value_kind:     by_value
    .group_segment_fixed_size: 24576
    .kernarg_segment_align: 8
    .kernarg_segment_size: 112
    .language:       OpenCL C
    .language_version:
      - 2
      - 0
    .max_flat_workgroup_size: 64
    .name:           _ZN2ck27kernel_gemm_xdl_cshuffle_v3INS_28GridwiseGemm_xdl_cshuffle_v3INS_13tensor_layout4gemm8RowMajorENS3_11ColumnMajorES4_DF16_NS_9f8_fnuz_tEfDF16_DF16_NS_16tensor_operation12element_wise11PassThroughES9_S9_LNS7_6device18GemmSpecializationE0ELi64ELi32ELi32ELi256ELi8ELi16ELi16ELi16ELi2ELi2ENS_8SequenceIJLi32ELi2ELi1EEEENSC_IJLi1ELi0ELi2EEEESE_Li2ELi8ELi8ELb0ELi0ENSC_IJLi16ELi4ELi1EEEESE_SE_Li2ELi16ELi16ELb0ELi0ELi1ELi1ENSC_IJLi1ELi16ELi1ELi4EEEELi4ELNS_26BlockGemmPipelineSchedulerE1ELNS_24BlockGemmPipelineVersionE0EDF16_DF16_Lb0ELb0ELb0ELi0ELb0EEELb0ELNS_25InMemoryDataOperationEnumE0ELi2ELNS_10TailNumberE10EEEvNT_8ArgumentE
    .private_segment_fixed_size: 0
    .sgpr_count:     34
    .sgpr_spill_count: 0
    .symbol:         _ZN2ck27kernel_gemm_xdl_cshuffle_v3INS_28GridwiseGemm_xdl_cshuffle_v3INS_13tensor_layout4gemm8RowMajorENS3_11ColumnMajorES4_DF16_NS_9f8_fnuz_tEfDF16_DF16_NS_16tensor_operation12element_wise11PassThroughES9_S9_LNS7_6device18GemmSpecializationE0ELi64ELi32ELi32ELi256ELi8ELi16ELi16ELi16ELi2ELi2ENS_8SequenceIJLi32ELi2ELi1EEEENSC_IJLi1ELi0ELi2EEEESE_Li2ELi8ELi8ELb0ELi0ENSC_IJLi16ELi4ELi1EEEESE_SE_Li2ELi16ELi16ELb0ELi0ELi1ELi1ENSC_IJLi1ELi16ELi1ELi4EEEELi4ELNS_26BlockGemmPipelineSchedulerE1ELNS_24BlockGemmPipelineVersionE0EDF16_DF16_Lb0ELb0ELb0ELi0ELb0EEELb0ELNS_25InMemoryDataOperationEnumE0ELi2ELNS_10TailNumberE10EEEvNT_8ArgumentE.kd
    .uniform_work_group_size: 1
    .uses_dynamic_stack: false
    .vgpr_count:     138
    .vgpr_spill_count: 0
    .wavefront_size: 64
  - .agpr_count:     0
    .args:
      - .offset:         0
        .size:           112
        .value_kind:     by_value
    .group_segment_fixed_size: 0
    .kernarg_segment_align: 8
    .kernarg_segment_size: 112
    .language:       OpenCL C
    .language_version:
      - 2
      - 0
    .max_flat_workgroup_size: 64
    .name:           _ZN2ck27kernel_gemm_xdl_cshuffle_v3INS_28GridwiseGemm_xdl_cshuffle_v3INS_13tensor_layout4gemm8RowMajorENS3_11ColumnMajorES4_DF16_NS_9f8_fnuz_tEfDF16_DF16_NS_16tensor_operation12element_wise11PassThroughES9_S9_LNS7_6device18GemmSpecializationE0ELi64ELi32ELi32ELi256ELi8ELi16ELi16ELi16ELi2ELi1ENS_8SequenceIJLi32ELi2ELi1EEEENSC_IJLi1ELi0ELi2EEEESE_Li2ELi8ELi8ELb0ELi0ENSC_IJLi16ELi4ELi1EEEESE_SE_Li2ELi16ELi16ELb0ELi0ELi1ELi1ENSC_IJLi1ELi16ELi1ELi4EEEELi4ELNS_26BlockGemmPipelineSchedulerE1ELNS_24BlockGemmPipelineVersionE0EDF16_DF16_Lb0ELb0ELb0ELi0ELb0EEELb1ELNS_25InMemoryDataOperationEnumE1ELi2ELNS_10TailNumberE10EEEvNT_8ArgumentE
    .private_segment_fixed_size: 0
    .sgpr_count:     6
    .sgpr_spill_count: 0
    .symbol:         _ZN2ck27kernel_gemm_xdl_cshuffle_v3INS_28GridwiseGemm_xdl_cshuffle_v3INS_13tensor_layout4gemm8RowMajorENS3_11ColumnMajorES4_DF16_NS_9f8_fnuz_tEfDF16_DF16_NS_16tensor_operation12element_wise11PassThroughES9_S9_LNS7_6device18GemmSpecializationE0ELi64ELi32ELi32ELi256ELi8ELi16ELi16ELi16ELi2ELi1ENS_8SequenceIJLi32ELi2ELi1EEEENSC_IJLi1ELi0ELi2EEEESE_Li2ELi8ELi8ELb0ELi0ENSC_IJLi16ELi4ELi1EEEESE_SE_Li2ELi16ELi16ELb0ELi0ELi1ELi1ENSC_IJLi1ELi16ELi1ELi4EEEELi4ELNS_26BlockGemmPipelineSchedulerE1ELNS_24BlockGemmPipelineVersionE0EDF16_DF16_Lb0ELb0ELb0ELi0ELb0EEELb1ELNS_25InMemoryDataOperationEnumE1ELi2ELNS_10TailNumberE10EEEvNT_8ArgumentE.kd
    .uniform_work_group_size: 1
    .uses_dynamic_stack: false
    .vgpr_count:     0
    .vgpr_spill_count: 0
    .wavefront_size: 64
  - .agpr_count:     0
    .args:
      - .offset:         0
        .size:           112
        .value_kind:     by_value
    .group_segment_fixed_size: 0
    .kernarg_segment_align: 8
    .kernarg_segment_size: 112
    .language:       OpenCL C
    .language_version:
      - 2
      - 0
    .max_flat_workgroup_size: 64
    .name:           _ZN2ck27kernel_gemm_xdl_cshuffle_v3INS_28GridwiseGemm_xdl_cshuffle_v3INS_13tensor_layout4gemm8RowMajorENS3_11ColumnMajorES4_DF16_NS_9f8_fnuz_tEfDF16_DF16_NS_16tensor_operation12element_wise11PassThroughES9_S9_LNS7_6device18GemmSpecializationE0ELi64ELi32ELi32ELi256ELi8ELi16ELi16ELi16ELi2ELi1ENS_8SequenceIJLi32ELi2ELi1EEEENSC_IJLi1ELi0ELi2EEEESE_Li2ELi8ELi8ELb0ELi0ENSC_IJLi16ELi4ELi1EEEESE_SE_Li2ELi16ELi16ELb0ELi0ELi1ELi1ENSC_IJLi1ELi16ELi1ELi4EEEELi4ELNS_26BlockGemmPipelineSchedulerE1ELNS_24BlockGemmPipelineVersionE0EDF16_DF16_Lb0ELb0ELb0ELi0ELb0EEELb1ELNS_25InMemoryDataOperationEnumE0ELi2ELNS_10TailNumberE10EEEvNT_8ArgumentE
    .private_segment_fixed_size: 0
    .sgpr_count:     6
    .sgpr_spill_count: 0
    .symbol:         _ZN2ck27kernel_gemm_xdl_cshuffle_v3INS_28GridwiseGemm_xdl_cshuffle_v3INS_13tensor_layout4gemm8RowMajorENS3_11ColumnMajorES4_DF16_NS_9f8_fnuz_tEfDF16_DF16_NS_16tensor_operation12element_wise11PassThroughES9_S9_LNS7_6device18GemmSpecializationE0ELi64ELi32ELi32ELi256ELi8ELi16ELi16ELi16ELi2ELi1ENS_8SequenceIJLi32ELi2ELi1EEEENSC_IJLi1ELi0ELi2EEEESE_Li2ELi8ELi8ELb0ELi0ENSC_IJLi16ELi4ELi1EEEESE_SE_Li2ELi16ELi16ELb0ELi0ELi1ELi1ENSC_IJLi1ELi16ELi1ELi4EEEELi4ELNS_26BlockGemmPipelineSchedulerE1ELNS_24BlockGemmPipelineVersionE0EDF16_DF16_Lb0ELb0ELb0ELi0ELb0EEELb1ELNS_25InMemoryDataOperationEnumE0ELi2ELNS_10TailNumberE10EEEvNT_8ArgumentE.kd
    .uniform_work_group_size: 1
    .uses_dynamic_stack: false
    .vgpr_count:     0
    .vgpr_spill_count: 0
    .wavefront_size: 64
  - .agpr_count:     0
    .args:
      - .offset:         0
        .size:           112
        .value_kind:     by_value
    .group_segment_fixed_size: 0
    .kernarg_segment_align: 8
    .kernarg_segment_size: 112
    .language:       OpenCL C
    .language_version:
      - 2
      - 0
    .max_flat_workgroup_size: 64
    .name:           _ZN2ck27kernel_gemm_xdl_cshuffle_v3INS_28GridwiseGemm_xdl_cshuffle_v3INS_13tensor_layout4gemm8RowMajorENS3_11ColumnMajorES4_DF16_NS_9f8_fnuz_tEfDF16_DF16_NS_16tensor_operation12element_wise11PassThroughES9_S9_LNS7_6device18GemmSpecializationE0ELi64ELi32ELi32ELi256ELi8ELi16ELi16ELi16ELi2ELi1ENS_8SequenceIJLi32ELi2ELi1EEEENSC_IJLi1ELi0ELi2EEEESE_Li2ELi8ELi8ELb0ELi0ENSC_IJLi16ELi4ELi1EEEESE_SE_Li2ELi16ELi16ELb0ELi0ELi1ELi1ENSC_IJLi1ELi16ELi1ELi4EEEELi4ELNS_26BlockGemmPipelineSchedulerE1ELNS_24BlockGemmPipelineVersionE0EDF16_DF16_Lb0ELb0ELb0ELi0ELb0EEELb0ELNS_25InMemoryDataOperationEnumE1ELi2ELNS_10TailNumberE10EEEvNT_8ArgumentE
    .private_segment_fixed_size: 0
    .sgpr_count:     6
    .sgpr_spill_count: 0
    .symbol:         _ZN2ck27kernel_gemm_xdl_cshuffle_v3INS_28GridwiseGemm_xdl_cshuffle_v3INS_13tensor_layout4gemm8RowMajorENS3_11ColumnMajorES4_DF16_NS_9f8_fnuz_tEfDF16_DF16_NS_16tensor_operation12element_wise11PassThroughES9_S9_LNS7_6device18GemmSpecializationE0ELi64ELi32ELi32ELi256ELi8ELi16ELi16ELi16ELi2ELi1ENS_8SequenceIJLi32ELi2ELi1EEEENSC_IJLi1ELi0ELi2EEEESE_Li2ELi8ELi8ELb0ELi0ENSC_IJLi16ELi4ELi1EEEESE_SE_Li2ELi16ELi16ELb0ELi0ELi1ELi1ENSC_IJLi1ELi16ELi1ELi4EEEELi4ELNS_26BlockGemmPipelineSchedulerE1ELNS_24BlockGemmPipelineVersionE0EDF16_DF16_Lb0ELb0ELb0ELi0ELb0EEELb0ELNS_25InMemoryDataOperationEnumE1ELi2ELNS_10TailNumberE10EEEvNT_8ArgumentE.kd
    .uniform_work_group_size: 1
    .uses_dynamic_stack: false
    .vgpr_count:     0
    .vgpr_spill_count: 0
    .wavefront_size: 64
  - .agpr_count:     0
    .args:
      - .offset:         0
        .size:           112
        .value_kind:     by_value
    .group_segment_fixed_size: 0
    .kernarg_segment_align: 8
    .kernarg_segment_size: 112
    .language:       OpenCL C
    .language_version:
      - 2
      - 0
    .max_flat_workgroup_size: 64
    .name:           _ZN2ck27kernel_gemm_xdl_cshuffle_v3INS_28GridwiseGemm_xdl_cshuffle_v3INS_13tensor_layout4gemm8RowMajorENS3_11ColumnMajorES4_DF16_NS_9f8_fnuz_tEfDF16_DF16_NS_16tensor_operation12element_wise11PassThroughES9_S9_LNS7_6device18GemmSpecializationE0ELi64ELi32ELi32ELi256ELi8ELi16ELi16ELi16ELi2ELi1ENS_8SequenceIJLi32ELi2ELi1EEEENSC_IJLi1ELi0ELi2EEEESE_Li2ELi8ELi8ELb0ELi0ENSC_IJLi16ELi4ELi1EEEESE_SE_Li2ELi16ELi16ELb0ELi0ELi1ELi1ENSC_IJLi1ELi16ELi1ELi4EEEELi4ELNS_26BlockGemmPipelineSchedulerE1ELNS_24BlockGemmPipelineVersionE0EDF16_DF16_Lb0ELb0ELb0ELi0ELb0EEELb0ELNS_25InMemoryDataOperationEnumE0ELi2ELNS_10TailNumberE10EEEvNT_8ArgumentE
    .private_segment_fixed_size: 0
    .sgpr_count:     6
    .sgpr_spill_count: 0
    .symbol:         _ZN2ck27kernel_gemm_xdl_cshuffle_v3INS_28GridwiseGemm_xdl_cshuffle_v3INS_13tensor_layout4gemm8RowMajorENS3_11ColumnMajorES4_DF16_NS_9f8_fnuz_tEfDF16_DF16_NS_16tensor_operation12element_wise11PassThroughES9_S9_LNS7_6device18GemmSpecializationE0ELi64ELi32ELi32ELi256ELi8ELi16ELi16ELi16ELi2ELi1ENS_8SequenceIJLi32ELi2ELi1EEEENSC_IJLi1ELi0ELi2EEEESE_Li2ELi8ELi8ELb0ELi0ENSC_IJLi16ELi4ELi1EEEESE_SE_Li2ELi16ELi16ELb0ELi0ELi1ELi1ENSC_IJLi1ELi16ELi1ELi4EEEELi4ELNS_26BlockGemmPipelineSchedulerE1ELNS_24BlockGemmPipelineVersionE0EDF16_DF16_Lb0ELb0ELb0ELi0ELb0EEELb0ELNS_25InMemoryDataOperationEnumE0ELi2ELNS_10TailNumberE10EEEvNT_8ArgumentE.kd
    .uniform_work_group_size: 1
    .uses_dynamic_stack: false
    .vgpr_count:     0
    .vgpr_spill_count: 0
    .wavefront_size: 64
amdhsa.target:   amdgcn-amd-amdhsa--gfx950
amdhsa.version:
  - 1
  - 2
...

	.end_amdgpu_metadata
